;; amdgpu-corpus repo=ROCm/rocFFT kind=compiled arch=gfx906 opt=O3
	.text
	.amdgcn_target "amdgcn-amd-amdhsa--gfx906"
	.amdhsa_code_object_version 6
	.protected	bluestein_single_back_len1056_dim1_half_op_CI_CI ; -- Begin function bluestein_single_back_len1056_dim1_half_op_CI_CI
	.globl	bluestein_single_back_len1056_dim1_half_op_CI_CI
	.p2align	8
	.type	bluestein_single_back_len1056_dim1_half_op_CI_CI,@function
bluestein_single_back_len1056_dim1_half_op_CI_CI: ; @bluestein_single_back_len1056_dim1_half_op_CI_CI
; %bb.0:
	s_load_dwordx4 s[16:19], s[4:5], 0x28
	v_mul_u32_u24_e32 v1, 0x175, v0
	v_add_u32_sdwa v12, s6, v1 dst_sel:DWORD dst_unused:UNUSED_PAD src0_sel:DWORD src1_sel:WORD_1
	v_mov_b32_e32 v13, 0
	s_waitcnt lgkmcnt(0)
	v_cmp_gt_u64_e32 vcc, s[16:17], v[12:13]
	s_and_saveexec_b64 s[0:1], vcc
	s_cbranch_execz .LBB0_10
; %bb.1:
	s_load_dwordx4 s[8:11], s[4:5], 0x18
	s_load_dwordx4 s[0:3], s[4:5], 0x0
	s_movk_i32 s6, 0xb0
	v_mul_lo_u16_sdwa v1, v1, s6 dst_sel:DWORD dst_unused:UNUSED_PAD src0_sel:WORD_1 src1_sel:DWORD
	v_sub_u16_e32 v29, v0, v1
	s_waitcnt lgkmcnt(0)
	s_load_dwordx4 s[12:15], s[8:9], 0x0
	v_lshlrev_b32_e32 v32, 2, v29
	v_lshlrev_b32_e32 v22, 3, v29
	s_load_dwordx2 s[4:5], s[4:5], 0x38
                                        ; implicit-def: $vgpr55
                                        ; implicit-def: $vgpr56
                                        ; implicit-def: $vgpr63
                                        ; implicit-def: $vgpr64
                                        ; implicit-def: $vgpr50
                                        ; implicit-def: $vgpr69
	s_waitcnt lgkmcnt(0)
	v_mad_u64_u32 v[0:1], s[6:7], s14, v12, 0
	v_mad_u64_u32 v[2:3], s[6:7], s12, v29, 0
	s_mul_i32 s9, s12, 0x840
	v_mad_u64_u32 v[4:5], s[6:7], s15, v12, v[1:2]
	v_mad_u64_u32 v[5:6], s[6:7], s13, v29, v[3:4]
	v_mov_b32_e32 v1, v4
	v_lshlrev_b64 v[0:1], 2, v[0:1]
	v_mov_b32_e32 v6, s19
	v_mov_b32_e32 v3, v5
	v_add_co_u32_e32 v4, vcc, s18, v0
	v_addc_co_u32_e32 v5, vcc, v6, v1, vcc
	v_lshlrev_b64 v[0:1], 2, v[2:3]
	s_mul_i32 s6, s13, 0x840
	v_add_co_u32_e32 v0, vcc, v4, v0
	s_mul_hi_u32 s7, s12, 0x840
	v_addc_co_u32_e32 v1, vcc, v5, v1, vcc
	s_add_i32 s8, s7, s6
	v_mov_b32_e32 v3, s8
	v_add_co_u32_e32 v2, vcc, s9, v0
	v_addc_co_u32_e32 v3, vcc, v1, v3, vcc
	v_mov_b32_e32 v6, 0xfffffa80
	global_load_dword v4, v[0:1], off
	global_load_dword v5, v[2:3], off
	v_mad_u64_u32 v[0:1], s[6:7], s12, v6, v[2:3]
	s_mul_i32 s6, s13, 0xfffffa80
	s_sub_i32 s13, s6, s12
	global_load_dword v31, v32, s[0:1]
	global_load_dword v30, v32, s[0:1] offset:2112
	v_add_u32_e32 v1, s13, v1
	global_load_dword v2, v[0:1], off
	global_load_dword v28, v32, s[0:1] offset:704
	v_mov_b32_e32 v3, s8
	v_add_co_u32_e32 v0, vcc, s9, v0
	v_addc_co_u32_e32 v1, vcc, v1, v3, vcc
	global_load_dword v3, v[0:1], off
	v_mad_u64_u32 v[0:1], s[6:7], s12, v6, v[0:1]
	global_load_dword v27, v32, s[0:1] offset:2816
	v_mov_b32_e32 v7, s8
	v_add_u32_e32 v1, s13, v1
	global_load_dword v6, v[0:1], off
	global_load_dword v25, v32, s[0:1] offset:3520
	global_load_dword v26, v32, s[0:1] offset:1408
	v_add_co_u32_e32 v0, vcc, s9, v0
	v_addc_co_u32_e32 v1, vcc, v1, v7, vcc
	global_load_dword v7, v[0:1], off
	v_add_u32_e32 v0, 0xa00, v32
	v_add_u32_e32 v1, 0x500, v32
	s_load_dwordx4 s[8:11], s[10:11], 0x0
	s_movk_i32 s6, 0x1fc
	s_movk_i32 s7, 0x3fc
	;; [unrolled: 1-line block ×4, first 2 shown]
	v_cmp_gt_u16_e32 vcc, s13, v29
	s_waitcnt vmcnt(11)
	v_lshrrev_b32_e32 v8, 16, v4
	s_waitcnt vmcnt(10)
	v_lshrrev_b32_e32 v10, 16, v5
	s_waitcnt vmcnt(9)
	v_mul_f16_sdwa v9, v31, v4 dst_sel:DWORD dst_unused:UNUSED_PAD src0_sel:WORD_1 src1_sel:DWORD
	v_fma_f16 v9, v31, v8, -v9
	v_mul_f16_sdwa v8, v31, v8 dst_sel:DWORD dst_unused:UNUSED_PAD src0_sel:WORD_1 src1_sel:DWORD
	s_waitcnt vmcnt(8)
	v_mul_f16_sdwa v11, v30, v5 dst_sel:DWORD dst_unused:UNUSED_PAD src0_sel:WORD_1 src1_sel:DWORD
	v_fma_f16 v4, v31, v4, v8
	v_fma_f16 v8, v30, v10, -v11
	v_mul_f16_sdwa v10, v30, v10 dst_sel:DWORD dst_unused:UNUSED_PAD src0_sel:WORD_1 src1_sel:DWORD
	v_fma_f16 v5, v30, v5, v10
	v_pack_b32_f16 v5, v5, v8
	ds_write_b32 v32, v5 offset:2112
	s_waitcnt vmcnt(7)
	v_lshrrev_b32_e32 v5, 16, v2
	s_waitcnt vmcnt(6)
	v_mul_f16_sdwa v8, v28, v2 dst_sel:DWORD dst_unused:UNUSED_PAD src0_sel:WORD_1 src1_sel:DWORD
	v_pack_b32_f16 v4, v4, v9
	v_mul_f16_sdwa v9, v28, v5 dst_sel:DWORD dst_unused:UNUSED_PAD src0_sel:WORD_1 src1_sel:DWORD
	v_fma_f16 v5, v28, v5, -v8
	s_waitcnt vmcnt(5)
	v_lshrrev_b32_e32 v8, 16, v3
	s_waitcnt vmcnt(4)
	v_mul_f16_sdwa v10, v27, v3 dst_sel:DWORD dst_unused:UNUSED_PAD src0_sel:WORD_1 src1_sel:DWORD
	v_fma_f16 v2, v28, v2, v9
	v_fma_f16 v9, v27, v8, -v10
	v_mul_f16_sdwa v8, v27, v8 dst_sel:DWORD dst_unused:UNUSED_PAD src0_sel:WORD_1 src1_sel:DWORD
	v_pack_b32_f16 v2, v2, v5
	v_fma_f16 v3, v27, v3, v8
	ds_write2_b32 v32, v4, v2 offset1:176
	v_pack_b32_f16 v2, v3, v9
	s_waitcnt vmcnt(3)
	v_lshrrev_b32_e32 v3, 16, v6
	s_waitcnt vmcnt(1)
	v_mul_f16_sdwa v4, v26, v6 dst_sel:DWORD dst_unused:UNUSED_PAD src0_sel:WORD_1 src1_sel:DWORD
	v_mul_f16_sdwa v5, v26, v3 dst_sel:DWORD dst_unused:UNUSED_PAD src0_sel:WORD_1 src1_sel:DWORD
	v_fma_f16 v3, v26, v3, -v4
	s_waitcnt vmcnt(0)
	v_lshrrev_b32_e32 v4, 16, v7
	v_mul_f16_sdwa v8, v25, v7 dst_sel:DWORD dst_unused:UNUSED_PAD src0_sel:WORD_1 src1_sel:DWORD
	v_fma_f16 v5, v26, v6, v5
	v_mul_f16_sdwa v6, v25, v4 dst_sel:DWORD dst_unused:UNUSED_PAD src0_sel:WORD_1 src1_sel:DWORD
	v_fma_f16 v4, v25, v4, -v8
	v_pack_b32_f16 v3, v5, v3
	v_fma_f16 v5, v25, v7, v6
	ds_write_b32 v32, v3 offset:1408
	v_pack_b32_f16 v3, v5, v4
	ds_write2_b32 v0, v2, v3 offset0:64 offset1:240
	s_waitcnt lgkmcnt(0)
	s_barrier
	ds_read2_b32 v[2:3], v32 offset1:176
	ds_read2_b32 v[4:5], v1 offset0:32 offset1:208
	ds_read2_b32 v[6:7], v0 offset0:64 offset1:240
	v_lshlrev_b32_e32 v11, 1, v29
	s_waitcnt lgkmcnt(0)
	s_barrier
	v_pk_add_f16 v8, v2, v5 neg_lo:[0,1] neg_hi:[0,1]
	v_pk_add_f16 v6, v3, v6 neg_lo:[0,1] neg_hi:[0,1]
	;; [unrolled: 1-line block ×3, first 2 shown]
	v_pk_fma_f16 v7, v2, 2.0, v8 op_sel_hi:[1,0,1] neg_lo:[0,0,1] neg_hi:[0,0,1]
	v_lshlrev_b32_e32 v2, 2, v11
	v_pk_fma_f16 v5, v3, 2.0, v6 op_sel_hi:[1,0,1] neg_lo:[0,0,1] neg_hi:[0,0,1]
	v_pk_fma_f16 v9, v4, 2.0, v10 op_sel_hi:[1,0,1] neg_lo:[0,0,1] neg_hi:[0,0,1]
	v_add_u32_e32 v2, 0x400, v2
	ds_write_b64 v22, v[7:8]
	ds_write2_b64 v2, v[5:6], v[9:10] offset0:48 offset1:224
	v_and_b32_e32 v2, 1, v29
	v_lshlrev_b32_e32 v3, 2, v2
	s_waitcnt lgkmcnt(0)
	s_barrier
	global_load_dword v21, v3, s[2:3]
	v_and_or_b32 v3, v11, s6, v2
	v_add_u32_e32 v43, 0x160, v11
	v_add_u32_e32 v44, 0x2c0, v11
	v_lshlrev_b32_e32 v24, 2, v3
	v_and_or_b32 v3, v43, s7, v2
	v_and_or_b32 v2, v44, s12, v2
	v_lshlrev_b32_e32 v34, 2, v3
	v_lshlrev_b32_e32 v23, 2, v2
	ds_read2_b32 v[2:3], v1 offset0:32 offset1:208
	ds_read2_b32 v[4:5], v32 offset1:176
	ds_read2_b32 v[6:7], v0 offset0:64 offset1:240
	v_and_b32_e32 v8, 3, v29
	v_lshlrev_b32_e32 v9, 2, v8
	s_waitcnt lgkmcnt(2)
	v_lshrrev_b32_e32 v10, 16, v3
	s_waitcnt lgkmcnt(1)
	v_lshrrev_b32_e32 v13, 16, v4
	;; [unrolled: 2-line block ×3, first 2 shown]
	v_lshrrev_b32_e32 v16, 16, v7
	v_lshrrev_b32_e32 v15, 16, v5
	;; [unrolled: 1-line block ×3, first 2 shown]
	s_waitcnt vmcnt(0)
	s_barrier
	s_movk_i32 s6, 0x1f8
	s_movk_i32 s7, 0x3f8
	;; [unrolled: 1-line block ×3, first 2 shown]
	v_mul_f16_sdwa v18, v3, v21 dst_sel:DWORD dst_unused:UNUSED_PAD src0_sel:DWORD src1_sel:WORD_1
	v_mul_f16_sdwa v19, v10, v21 dst_sel:DWORD dst_unused:UNUSED_PAD src0_sel:DWORD src1_sel:WORD_1
	;; [unrolled: 1-line block ×6, first 2 shown]
	v_fma_f16 v10, v10, v21, v18
	v_fma_f16 v3, v3, v21, -v19
	v_fma_f16 v14, v14, v21, v20
	v_fma_f16 v6, v6, v21, -v33
	v_fma_f16 v7, v7, v21, -v35
	v_fma_f16 v16, v16, v21, v36
	v_sub_f16_e32 v3, v4, v3
	v_sub_f16_e32 v10, v13, v10
	;; [unrolled: 1-line block ×6, first 2 shown]
	v_fma_f16 v13, v13, 2.0, -v10
	v_pack_b32_f16 v10, v3, v10
	v_fma_f16 v3, v4, 2.0, -v3
	v_fma_f16 v4, v5, 2.0, -v6
	;; [unrolled: 1-line block ×3, first 2 shown]
	v_pack_b32_f16 v6, v6, v14
	v_fma_f16 v2, v2, 2.0, -v7
	v_fma_f16 v14, v17, 2.0, -v16
	v_pack_b32_f16 v3, v3, v13
	v_pack_b32_f16 v7, v7, v16
	;; [unrolled: 1-line block ×4, first 2 shown]
	ds_write2_b32 v24, v3, v10 offset1:2
	ds_write2_b32 v34, v4, v6 offset1:2
	;; [unrolled: 1-line block ×3, first 2 shown]
	s_waitcnt lgkmcnt(0)
	s_barrier
	global_load_dword v35, v9, s[2:3] offset:8
	v_and_or_b32 v2, v11, s6, v8
	v_lshlrev_b32_e32 v37, 2, v2
	v_and_or_b32 v2, v43, s7, v8
	v_and_or_b32 v3, v44, s12, v8
	v_lshlrev_b32_e32 v38, 2, v2
	v_lshlrev_b32_e32 v36, 2, v3
	ds_read2_b32 v[2:3], v1 offset0:32 offset1:208
	ds_read2_b32 v[4:5], v32 offset1:176
	ds_read2_b32 v[6:7], v0 offset0:64 offset1:240
	v_and_b32_e32 v9, 7, v29
	v_lshlrev_b32_e32 v10, 2, v9
	s_waitcnt lgkmcnt(2)
	v_lshrrev_b32_e32 v8, 16, v3
	s_waitcnt lgkmcnt(1)
	v_lshrrev_b32_e32 v13, 16, v4
	s_waitcnt lgkmcnt(0)
	v_lshrrev_b32_e32 v14, 16, v6
	v_lshrrev_b32_e32 v16, 16, v7
	v_lshrrev_b32_e32 v15, 16, v5
	;; [unrolled: 1-line block ×3, first 2 shown]
	s_waitcnt vmcnt(0)
	s_barrier
	s_movk_i32 s6, 0x1f0
	s_movk_i32 s7, 0x3f0
	;; [unrolled: 1-line block ×3, first 2 shown]
	v_mul_f16_sdwa v18, v3, v35 dst_sel:DWORD dst_unused:UNUSED_PAD src0_sel:DWORD src1_sel:WORD_1
	v_mul_f16_sdwa v19, v8, v35 dst_sel:DWORD dst_unused:UNUSED_PAD src0_sel:DWORD src1_sel:WORD_1
	;; [unrolled: 1-line block ×6, first 2 shown]
	v_fma_f16 v8, v8, v35, v18
	v_fma_f16 v3, v3, v35, -v19
	v_fma_f16 v14, v14, v35, v20
	v_fma_f16 v6, v6, v35, -v33
	v_fma_f16 v7, v7, v35, -v39
	v_fma_f16 v16, v16, v35, v40
	v_sub_f16_e32 v3, v4, v3
	v_sub_f16_e32 v8, v13, v8
	;; [unrolled: 1-line block ×6, first 2 shown]
	v_fma_f16 v13, v13, 2.0, -v8
	v_pack_b32_f16 v8, v3, v8
	v_fma_f16 v3, v4, 2.0, -v3
	v_fma_f16 v4, v5, 2.0, -v6
	;; [unrolled: 1-line block ×3, first 2 shown]
	v_pack_b32_f16 v6, v6, v14
	v_fma_f16 v2, v2, 2.0, -v7
	v_fma_f16 v14, v17, 2.0, -v16
	v_pack_b32_f16 v3, v3, v13
	v_pack_b32_f16 v7, v7, v16
	;; [unrolled: 1-line block ×4, first 2 shown]
	ds_write2_b32 v37, v3, v8 offset1:4
	ds_write2_b32 v38, v4, v6 offset1:4
	;; [unrolled: 1-line block ×3, first 2 shown]
	s_waitcnt lgkmcnt(0)
	s_barrier
	global_load_dword v39, v10, s[2:3] offset:24
	v_and_or_b32 v2, v11, s6, v9
	v_lshlrev_b32_e32 v41, 2, v2
	v_and_or_b32 v2, v43, s7, v9
	v_and_or_b32 v3, v44, s12, v9
	v_lshlrev_b32_e32 v42, 2, v2
	v_lshlrev_b32_e32 v40, 2, v3
	ds_read2_b32 v[1:2], v1 offset0:32 offset1:208
	ds_read2_b32 v[3:4], v0 offset0:64 offset1:240
	ds_read2_b32 v[5:6], v32 offset1:176
	s_waitcnt vmcnt(0) lgkmcnt(0)
	s_barrier
	v_lshrrev_b32_e32 v0, 16, v2
	v_lshrrev_b32_e32 v8, 16, v3
	;; [unrolled: 1-line block ×6, first 2 shown]
	s_waitcnt lgkmcnt(0)
                                        ; implicit-def: $vgpr19
	v_mul_f16_sdwa v10, v2, v39 dst_sel:DWORD dst_unused:UNUSED_PAD src0_sel:DWORD src1_sel:WORD_1
	v_mul_f16_sdwa v11, v0, v39 dst_sel:DWORD dst_unused:UNUSED_PAD src0_sel:DWORD src1_sel:WORD_1
	;; [unrolled: 1-line block ×6, first 2 shown]
	v_fma_f16 v0, v0, v39, v10
	v_fma_f16 v2, v2, v39, -v11
	v_fma_f16 v3, v3, v39, -v15
	v_fma_f16 v8, v8, v39, v16
	v_fma_f16 v4, v4, v39, -v17
	v_fma_f16 v10, v9, v39, v18
	v_sub_f16_e32 v45, v7, v0
	v_sub_f16_e32 v9, v5, v2
	;; [unrolled: 1-line block ×6, first 2 shown]
	v_fma_f16 v8, v5, 2.0, -v9
	v_fma_f16 v51, v7, 2.0, -v45
	v_pack_b32_f16 v0, v9, v45
	v_fma_f16 v10, v6, 2.0, -v11
	v_fma_f16 v47, v13, 2.0, -v46
	v_fma_f16 v15, v1, 2.0, -v16
	v_fma_f16 v48, v14, 2.0, -v49
	v_pack_b32_f16 v3, v8, v51
	v_pack_b32_f16 v2, v11, v46
	v_pack_b32_f16 v1, v16, v49
	v_pack_b32_f16 v4, v10, v47
	v_pack_b32_f16 v5, v15, v48
	ds_write2_b32 v41, v3, v0 offset1:8
	ds_write2_b32 v42, v4, v2 offset1:8
	;; [unrolled: 1-line block ×3, first 2 shown]
	s_waitcnt lgkmcnt(0)
	s_barrier
	s_waitcnt lgkmcnt(0)
                                        ; implicit-def: $vgpr17
	s_and_saveexec_b64 s[6:7], vcc
	s_cbranch_execz .LBB0_3
; %bb.2:
	v_add_u32_e32 v0, 0x200, v32
	ds_read2_b32 v[10:11], v0 offset0:64 offset1:160
	v_add_u32_e32 v0, 0x400, v32
	ds_read2_b32 v[15:16], v0 offset0:128 offset1:224
	;; [unrolled: 2-line block ×3, first 2 shown]
	v_add_u32_e32 v0, 0xc00, v32
	ds_read2_b32 v[8:9], v32 offset1:96
	ds_read2_b32 v[17:18], v0 offset1:96
	ds_read_b32 v50, v32 offset:3840
	s_waitcnt lgkmcnt(5)
	v_lshrrev_b32_e32 v47, 16, v10
	v_lshrrev_b32_e32 v46, 16, v11
	s_waitcnt lgkmcnt(2)
	v_lshrrev_b32_e32 v51, 16, v8
	v_lshrrev_b32_e32 v45, 16, v9
	v_lshrrev_b32_e32 v48, 16, v15
	v_lshrrev_b32_e32 v49, 16, v16
	v_lshrrev_b32_e32 v55, 16, v19
	v_lshrrev_b32_e32 v56, 16, v20
	s_waitcnt lgkmcnt(1)
	v_lshrrev_b32_e32 v63, 16, v17
	v_lshrrev_b32_e32 v64, 16, v18
	s_waitcnt lgkmcnt(0)
	v_lshrrev_b32_e32 v69, 16, v50
.LBB0_3:
	s_or_b64 exec, exec, s[6:7]
	v_and_b32_e32 v33, 15, v29
	v_mad_u64_u32 v[52:53], s[6:7], v33, 40, s[2:3]
	s_movk_i32 s6, 0x36a6
	s_mov_b32 s12, 0xb08e
	global_load_dwordx4 v[0:3], v[52:53], off offset:56
	global_load_dwordx4 v[4:7], v[52:53], off offset:72
	global_load_dwordx2 v[13:14], v[52:53], off offset:88
	s_mov_b32 s7, 0xb93d
	s_mov_b32 s13, 0xbbad
	s_movk_i32 s14, 0x3abb
	s_waitcnt vmcnt(0)
	s_barrier
	v_mul_f16_sdwa v65, v45, v0 dst_sel:DWORD dst_unused:UNUSED_PAD src0_sel:DWORD src1_sel:WORD_1
	v_mul_f16_sdwa v52, v47, v1 dst_sel:DWORD dst_unused:UNUSED_PAD src0_sel:DWORD src1_sel:WORD_1
	;; [unrolled: 1-line block ×16, first 2 shown]
	v_fma_f16 v57, v10, v1, -v52
	v_fma_f16 v58, v11, v2, -v54
	v_fma_f16 v10, v45, v0, v72
	v_fma_f16 v54, v49, v4, v68
	v_fma_f16 v68, v9, v0, -v65
	v_fma_f16 v9, v56, v6, v71
	v_fma_f16 v56, v63, v7, v74
	;; [unrolled: 1-line block ×4, first 2 shown]
	v_mul_f16_sdwa v66, v11, v2 dst_sel:DWORD dst_unused:UNUSED_PAD src0_sel:DWORD src1_sel:WORD_1
	v_mul_f16_sdwa v70, v19, v5 dst_sel:DWORD dst_unused:UNUSED_PAD src0_sel:DWORD src1_sel:WORD_1
	v_fma_f16 v61, v19, v5, -v61
	v_fma_f16 v11, v47, v1, v53
	v_fma_f16 v53, v48, v3, v67
	v_fma_f16 v67, v50, v14, -v77
	v_sub_f16_e32 v19, v10, v64
	v_mul_f16_sdwa v59, v48, v3 dst_sel:DWORD dst_unused:UNUSED_PAD src0_sel:DWORD src1_sel:WORD_1
	v_fma_f16 v62, v20, v6, -v62
	v_fma_f16 v52, v46, v2, v66
	v_fma_f16 v55, v55, v5, v70
	v_fma_f16 v66, v18, v13, -v75
	v_add_f16_e32 v88, v68, v67
	v_sub_f16_e32 v20, v11, v63
	v_mul_f16_e32 v70, 0xbb47, v19
	v_mul_f16_e32 v77, 0xbbeb, v19
	v_mul_f16_sdwa v60, v49, v4 dst_sel:DWORD dst_unused:UNUSED_PAD src0_sel:DWORD src1_sel:WORD_1
	v_fma_f16 v59, v15, v3, -v59
	v_fma_f16 v65, v17, v7, -v73
	v_add_f16_e32 v86, v57, v66
	v_sub_f16_e32 v45, v52, v56
	v_mul_f16_e32 v69, 0xba0c, v20
	v_mul_f16_e32 v74, 0x3482, v20
	v_fma_f16 v15, v88, s6, v70
	v_fma_f16 v17, v88, s12, v77
	v_fma_f16 v60, v16, v4, -v60
	v_add_f16_e32 v83, v58, v65
	v_sub_f16_e32 v46, v53, v9
	v_mul_f16_e32 v75, 0x3b47, v45
	v_fma_f16 v16, v86, s7, v69
	v_fma_f16 v18, v86, s13, v74
	v_add_f16_e32 v15, v8, v15
	v_add_f16_e32 v17, v8, v17
	;; [unrolled: 1-line block ×3, first 2 shown]
	v_sub_f16_e32 v47, v54, v55
	v_mul_f16_e32 v71, 0x3482, v45
	v_mul_f16_e32 v76, 0xb853, v46
	v_fma_f16 v49, v83, s6, v75
	v_add_f16_e32 v15, v16, v15
	v_add_f16_e32 v16, v18, v17
	;; [unrolled: 1-line block ×3, first 2 shown]
	v_mul_f16_e32 v72, 0x3beb, v46
	v_mul_f16_e32 v78, 0xba0c, v47
	v_fma_f16 v48, v83, s13, v71
	v_fma_f16 v80, v79, s14, v76
	v_add_f16_e32 v16, v49, v16
	v_mul_f16_e32 v73, 0x3853, v47
	v_mul_f16_e32 v82, 0xba0c, v19
	v_fma_f16 v50, v79, s12, v72
	v_fma_f16 v87, v85, s7, v78
	v_add_f16_e32 v15, v48, v15
	v_add_f16_e32 v16, v80, v16
	v_mul_f16_e32 v96, 0xb482, v19
	v_mul_f16_e32 v84, 0x3beb, v20
	v_fma_f16 v81, v85, s14, v73
	v_fma_f16 v89, v88, s7, v82
	v_add_f16_e32 v15, v50, v15
	v_add_f16_e32 v17, v87, v16
	v_fma_f16 v16, v88, s13, v96
	v_mul_f16_e32 v97, 0x3853, v20
	v_add_f16_e32 v89, v8, v89
	v_add_f16_e32 v18, v81, v15
	v_fma_f16 v15, v86, s12, v84
	v_add_f16_e32 v16, v8, v16
	v_fma_f16 v48, v86, s14, v97
	v_mul_f16_e32 v90, 0xb853, v45
	v_add_f16_e32 v15, v15, v89
	v_add_f16_e32 v16, v48, v16
	v_fma_f16 v48, v83, s14, v90
	v_mul_f16_e32 v100, 0xba0c, v45
	v_add_f16_e32 v15, v48, v15
	v_fma_f16 v48, v83, s7, v100
	v_mul_f16_e32 v92, 0xb482, v46
	v_mul_f16_e32 v80, 0xb853, v19
	v_add_f16_e32 v16, v48, v16
	v_fma_f16 v48, v79, s13, v92
	v_mul_f16_e32 v101, 0x3b47, v46
	v_fma_f16 v19, v88, s14, v80
	v_mul_f16_e32 v81, 0xbb47, v20
	v_add_f16_e32 v15, v48, v15
	v_fma_f16 v48, v79, s6, v101
	v_mul_f16_e32 v93, 0x3b47, v47
	v_add_f16_e32 v19, v8, v19
	v_fma_f16 v20, v86, s6, v81
	v_add_f16_e32 v48, v48, v16
	v_fma_f16 v16, v85, s6, v93
	v_mul_f16_e32 v102, 0xbbeb, v47
	v_add_f16_e32 v19, v20, v19
	v_sub_f16_e32 v20, v68, v67
	v_add_f16_e32 v16, v16, v15
	v_fma_f16 v15, v85, s12, v102
	v_add_f16_e32 v120, v10, v64
	v_mul_f16_e32 v87, 0xb853, v20
	v_sub_f16_e32 v49, v57, v66
	v_add_f16_e32 v15, v15, v48
	v_fma_f16 v48, v120, s14, -v87
	v_add_f16_e32 v118, v11, v63
	v_mul_f16_e32 v89, 0xbb47, v49
	v_add_f16_e32 v48, v51, v48
	v_fma_f16 v50, v118, s6, -v89
	v_mul_f16_e32 v94, 0xbb47, v20
	v_add_f16_e32 v48, v50, v48
	v_fma_f16 v50, v120, s6, -v94
	;; [unrolled: 3-line block ×7, first 2 shown]
	v_add_f16_e32 v103, v98, v91
	v_mul_f16_e32 v91, 0xbbeb, v45
	v_mul_f16_e32 v116, 0xb482, v20
	v_fma_f16 v45, v83, s12, v91
	v_fma_f16 v20, v120, s13, -v116
	v_mul_f16_e32 v117, 0x3853, v49
	v_add_f16_e32 v19, v45, v19
	v_sub_f16_e32 v45, v58, v65
	v_add_f16_e32 v20, v51, v20
	v_fma_f16 v49, v118, s14, -v117
	v_add_f16_e32 v123, v52, v56
	v_mul_f16_e32 v98, 0xbbeb, v45
	v_add_f16_e32 v20, v49, v20
	v_fma_f16 v49, v123, s12, -v98
	v_mul_f16_e32 v107, 0x3482, v45
	v_add_f16_e32 v48, v49, v48
	v_fma_f16 v49, v123, s13, -v107
	;; [unrolled: 3-line block ×5, first 2 shown]
	v_mul_f16_e32 v99, 0xba0c, v46
	v_add_f16_e32 v20, v45, v20
	v_fma_f16 v45, v79, s7, v99
	v_add_f16_e32 v19, v45, v19
	v_sub_f16_e32 v45, v59, v62
	v_add_f16_e32 v126, v53, v9
	v_mul_f16_e32 v103, 0xba0c, v45
	v_fma_f16 v46, v126, s7, -v103
	v_mul_f16_e32 v109, 0x3beb, v45
	v_add_f16_e32 v46, v46, v48
	v_fma_f16 v48, v126, s12, -v109
	v_mul_f16_e32 v114, 0xb853, v45
	v_add_f16_e32 v48, v48, v49
	;; [unrolled: 3-line block ×5, first 2 shown]
	v_fma_f16 v45, v85, s13, v105
	v_add_f16_e32 v49, v45, v19
	v_sub_f16_e32 v19, v60, v61
	v_add_f16_e32 v127, v54, v55
	v_mul_f16_e32 v108, 0xb482, v19
	v_fma_f16 v45, v127, s13, -v108
	v_mul_f16_e32 v113, 0x3853, v19
	v_add_f16_e32 v50, v45, v46
	v_fma_f16 v45, v127, s14, -v113
	v_mul_f16_e32 v119, 0xba0c, v19
	v_add_f16_e32 v48, v45, v48
	v_fma_f16 v45, v127, s7, -v119
	v_add_f16_e32 v47, v45, v124
	v_mul_f16_e32 v124, 0x3b47, v19
	v_fma_f16 v45, v127, s6, -v124
	v_add_f16_e32 v46, v45, v128
	v_mul_f16_e32 v128, 0xbbeb, v19
	v_fma_f16 v19, v127, s12, -v128
	v_add_f16_e32 v45, v19, v20
	v_lshlrev_b32_e32 v20, 2, v43
	v_lshlrev_b32_e32 v19, 2, v44
	v_lshrrev_b32_e32 v43, 4, v29
	s_and_saveexec_b64 s[6:7], vcc
	s_cbranch_execz .LBB0_5
; %bb.4:
	v_mul_f16_e32 v130, 0x36a6, v88
	v_mul_f16_e32 v44, 0x3abb, v88
	;; [unrolled: 1-line block ×6, first 2 shown]
	v_sub_f16_e32 v70, v130, v70
	v_mul_f16_e32 v136, 0x36a6, v86
	v_mul_f16_e32 v140, 0xbbad, v86
	;; [unrolled: 1-line block ×5, first 2 shown]
	v_sub_f16_e32 v88, v88, v96
	v_add_f16_e32 v70, v8, v70
	v_sub_f16_e32 v69, v138, v69
	v_mul_f16_e32 v144, 0xb08e, v83
	v_mul_f16_e32 v148, 0x36a6, v83
	v_mul_f16_e32 v150, 0x3abb, v83
	v_mul_f16_e32 v83, 0xb93d, v83
	v_mul_f16_e32 v154, 0xb08e, v79
	v_add_f16_e32 v88, v8, v88
	v_sub_f16_e32 v86, v86, v97
	v_add_f16_e32 v69, v69, v70
	v_sub_f16_e32 v70, v146, v71
	v_mul_f16_e32 v152, 0xb93d, v79
	v_mul_f16_e32 v156, 0x3abb, v79
	v_mul_f16_e32 v158, 0xbbad, v79
	v_mul_f16_e32 v79, 0x36a6, v79
	v_mul_f16_e32 v162, 0x3abb, v85
	v_add_f16_e32 v86, v86, v88
	;; [unrolled: 9-line block ×3, first 2 shown]
	v_sub_f16_e32 v79, v79, v101
	v_sub_f16_e32 v82, v134, v82
	;; [unrolled: 1-line block ×3, first 2 shown]
	v_add_f16_e32 v69, v70, v69
	v_sub_f16_e32 v70, v162, v73
	v_sub_f16_e32 v44, v44, v80
	v_mul_f16_e32 v135, 0xb93d, v120
	v_mul_f16_e32 v137, 0x36a6, v118
	v_add_f16_e32 v79, v79, v83
	v_sub_f16_e32 v83, v85, v102
	v_add_f16_e32 v82, v8, v82
	v_add_f16_e32 v77, v8, v77
	;; [unrolled: 1-line block ×7, first 2 shown]
	v_mul_f16_e32 v143, 0xb08e, v118
	v_mul_f16_e32 v145, 0xb08e, v123
	v_add_f16_e32 v79, v83, v79
	v_add_f16_e32 v83, v111, v135
	v_sub_f16_e32 v84, v142, v84
	v_sub_f16_e32 v74, v140, v74
	v_add_f16_e32 v70, v51, v70
	v_add_f16_e32 v71, v89, v137
	v_add_f16_e32 v8, v8, v57
	v_add_f16_e32 v10, v10, v11
	v_mul_f16_e32 v151, 0x3abb, v123
	v_mul_f16_e32 v153, 0xb93d, v126
	v_add_f16_e32 v83, v51, v83
	v_add_f16_e32 v85, v112, v143
	;; [unrolled: 1-line block ×3, first 2 shown]
	v_sub_f16_e32 v84, v150, v90
	v_add_f16_e32 v74, v74, v77
	v_sub_f16_e32 v75, v148, v75
	v_add_f16_e32 v70, v71, v70
	v_add_f16_e32 v71, v98, v145
	;; [unrolled: 1-line block ×4, first 2 shown]
	v_mul_f16_e32 v159, 0xbbad, v126
	v_mul_f16_e32 v161, 0xbbad, v127
	v_add_f16_e32 v83, v85, v83
	v_add_f16_e32 v85, v115, v151
	;; [unrolled: 1-line block ×3, first 2 shown]
	v_sub_f16_e32 v84, v158, v92
	v_add_f16_e32 v74, v75, v74
	v_sub_f16_e32 v75, v156, v76
	v_add_f16_e32 v70, v71, v70
	v_add_f16_e32 v71, v103, v153
	;; [unrolled: 1-line block ×4, first 2 shown]
	v_mul_f16_e32 v131, 0x36a6, v120
	v_mul_f16_e32 v133, 0xb08e, v120
	;; [unrolled: 1-line block ×3, first 2 shown]
	v_add_f16_e32 v83, v85, v83
	v_add_f16_e32 v85, v121, v159
	;; [unrolled: 1-line block ×3, first 2 shown]
	v_sub_f16_e32 v84, v166, v93
	v_add_f16_e32 v74, v75, v74
	v_sub_f16_e32 v75, v164, v78
	v_add_f16_e32 v70, v71, v70
	v_add_f16_e32 v71, v108, v161
	;; [unrolled: 1-line block ×4, first 2 shown]
	v_mul_f16_e32 v120, 0xbbad, v120
	v_mul_f16_e32 v139, 0xb93d, v118
	v_mul_f16_e32 v141, 0xbbad, v118
	v_add_f16_e32 v83, v85, v83
	v_add_f16_e32 v85, v124, v167
	v_add_f16_e32 v82, v84, v82
	v_add_f16_e32 v84, v104, v133
	v_add_f16_e32 v74, v75, v74
	v_add_f16_e32 v75, v94, v131
	v_add_f16_e32 v70, v71, v70
	v_sub_f16_e32 v71, v136, v81
	v_add_f16_e32 v8, v8, v61
	v_add_f16_e32 v10, v10, v55
	v_mul_f16_e32 v118, 0x3abb, v118
	v_mul_f16_e32 v147, 0xbbad, v123
	v_mul_f16_e32 v149, 0x36a6, v123
	v_add_f16_e32 v116, v116, v120
	v_add_f16_e32 v83, v85, v83
	v_add_f16_e32 v84, v51, v84
	v_add_f16_e32 v85, v106, v141
	v_add_f16_e32 v75, v51, v75
	v_add_f16_e32 v76, v95, v139
	v_add_f16_e32 v44, v71, v44
	v_sub_f16_e32 v71, v144, v91
	v_add_f16_e32 v8, v8, v62
	v_add_f16_e32 v9, v10, v9
	;; [unrolled: 13-line block ×4, first 2 shown]
	v_mul_u32_u24_e32 v10, 0xb0, v43
	v_mul_f16_e32 v127, 0xb08e, v127
	v_add_f16_e32 v116, v117, v116
	v_add_f16_e32 v117, v125, v126
	;; [unrolled: 1-line block ×9, first 2 shown]
	v_or_b32_e32 v10, v10, v33
	v_add_f16_e32 v116, v117, v116
	v_add_f16_e32 v117, v128, v127
	;; [unrolled: 1-line block ×4, first 2 shown]
	v_lshlrev_b32_e32 v10, 2, v10
	v_pack_b32_f16 v8, v8, v9
	v_pack_b32_f16 v9, v44, v70
	v_add_f16_e32 v116, v117, v116
	ds_write2_b32 v10, v8, v9 offset1:16
	v_pack_b32_f16 v8, v69, v75
	v_pack_b32_f16 v9, v74, v84
	ds_write2_b32 v10, v8, v9 offset0:32 offset1:48
	v_pack_b32_f16 v8, v82, v83
	v_pack_b32_f16 v9, v79, v116
	s_mov_b32 s12, 0x5040100
	ds_write2_b32 v10, v8, v9 offset0:64 offset1:80
	v_perm_b32 v8, v45, v15, s12
	v_perm_b32 v9, v46, v16, s12
	ds_write2_b32 v10, v8, v9 offset0:96 offset1:112
	v_perm_b32 v8, v47, v17, s12
	v_perm_b32 v9, v48, v18, s12
	ds_write2_b32 v10, v8, v9 offset0:128 offset1:144
	v_perm_b32 v8, v50, v49, s12
	ds_write_b32 v10, v8 offset:640
.LBB0_5:
	s_or_b64 exec, exec, s[6:7]
	v_mad_u64_u32 v[51:52], s[2:3], v29, 20, s[2:3]
	s_waitcnt lgkmcnt(0)
	s_barrier
	global_load_dwordx4 v[8:11], v[51:52], off offset:696
	global_load_dword v44, v[51:52], off offset:712
	v_mov_b32_e32 v55, s1
	v_add_u32_e32 v62, 0x500, v32
	v_add_u32_e32 v63, 0xa00, v32
	v_add_co_u32_e64 v57, s[0:1], s0, v32
	ds_read2_b32 v[53:54], v62 offset0:32 offset1:208
	v_addc_co_u32_e64 v58, s[0:1], 0, v55, s[0:1]
	ds_read2_b32 v[55:56], v63 offset0:64 offset1:240
	ds_read2_b32 v[51:52], v32 offset1:176
	s_waitcnt lgkmcnt(2)
	v_lshrrev_b32_e32 v64, 16, v54
	v_lshrrev_b32_e32 v61, 16, v53
	s_movk_i32 s2, 0x3aee
	s_waitcnt lgkmcnt(1)
	v_lshrrev_b32_e32 v66, 16, v56
	s_waitcnt lgkmcnt(0)
	v_lshrrev_b32_e32 v60, 16, v52
	v_lshrrev_b32_e32 v65, 16, v55
	;; [unrolled: 1-line block ×3, first 2 shown]
	s_mov_b32 s3, 0xbaee
	s_movk_i32 s0, 0x1000
	s_waitcnt vmcnt(1)
	v_mul_f16_sdwa v68, v52, v8 dst_sel:DWORD dst_unused:UNUSED_PAD src0_sel:DWORD src1_sel:WORD_1
	v_mul_f16_sdwa v70, v53, v9 dst_sel:DWORD dst_unused:UNUSED_PAD src0_sel:DWORD src1_sel:WORD_1
	;; [unrolled: 1-line block ×5, first 2 shown]
	s_waitcnt vmcnt(0)
	v_mul_f16_sdwa v75, v66, v44 dst_sel:DWORD dst_unused:UNUSED_PAD src0_sel:DWORD src1_sel:WORD_1
	v_mul_f16_sdwa v76, v56, v44 dst_sel:DWORD dst_unused:UNUSED_PAD src0_sel:DWORD src1_sel:WORD_1
	;; [unrolled: 1-line block ×5, first 2 shown]
	v_fma_f16 v60, v60, v8, v68
	v_fma_f16 v61, v61, v9, v70
	v_fma_f16 v54, v54, v10, -v71
	v_fma_f16 v64, v64, v10, v72
	v_fma_f16 v65, v65, v11, v74
	v_fma_f16 v56, v56, v44, -v75
	v_fma_f16 v66, v66, v44, v76
	v_fma_f16 v52, v52, v8, -v67
	v_fma_f16 v53, v53, v9, -v69
	;; [unrolled: 1-line block ×3, first 2 shown]
	v_sub_f16_e32 v69, v61, v65
	v_add_f16_e32 v70, v59, v61
	v_add_f16_e32 v61, v61, v65
	;; [unrolled: 1-line block ×3, first 2 shown]
	v_sub_f16_e32 v73, v64, v66
	v_add_f16_e32 v74, v60, v64
	v_add_f16_e32 v64, v64, v66
	;; [unrolled: 1-line block ×4, first 2 shown]
	v_sub_f16_e32 v53, v53, v55
	v_add_f16_e32 v71, v52, v54
	v_sub_f16_e32 v54, v54, v56
	v_fma_f16 v59, v61, -0.5, v59
	v_fma_f16 v52, v72, -0.5, v52
	;; [unrolled: 1-line block ×3, first 2 shown]
	v_add_f16_e32 v55, v67, v55
	v_fma_f16 v51, v68, -0.5, v51
	v_add_f16_e32 v65, v70, v65
	v_add_f16_e32 v56, v71, v56
	;; [unrolled: 1-line block ×3, first 2 shown]
	v_fma_f16 v66, v53, s3, v59
	v_fma_f16 v53, v53, s2, v59
	;; [unrolled: 1-line block ×8, first 2 shown]
	v_add_f16_e32 v60, v55, v56
	v_add_f16_e32 v68, v65, v61
	v_sub_f16_e32 v55, v55, v56
	v_sub_f16_e32 v56, v65, v61
	v_mul_f16_e32 v61, 0x3aee, v67
	v_mul_f16_e32 v69, 0xbaee, v59
	v_mul_f16_e32 v65, -0.5, v52
	v_mul_f16_e32 v70, -0.5, v54
	v_fma_f16 v59, v59, 0.5, v61
	v_fma_f16 v61, v67, 0.5, v69
	v_fma_f16 v54, v54, s2, v65
	v_fma_f16 v52, v52, s3, v70
	v_add_f16_e32 v65, v64, v59
	v_add_f16_e32 v69, v66, v61
	;; [unrolled: 1-line block ×4, first 2 shown]
	v_sub_f16_e32 v52, v53, v52
	v_pack_b32_f16 v53, v60, v68
	v_pack_b32_f16 v60, v65, v69
	v_sub_f16_e32 v59, v64, v59
	v_sub_f16_e32 v51, v51, v54
	;; [unrolled: 1-line block ×3, first 2 shown]
	ds_write2_b32 v32, v53, v60 offset1:176
	v_pack_b32_f16 v53, v67, v70
	v_pack_b32_f16 v55, v55, v56
	ds_write2_b32 v62, v53, v55 offset0:32 offset1:208
	v_pack_b32_f16 v53, v59, v54
	v_pack_b32_f16 v51, v51, v52
	ds_write2_b32 v63, v53, v51 offset0:64 offset1:240
	v_add_co_u32_e64 v51, s[0:1], s0, v57
	v_addc_co_u32_e64 v52, s[0:1], 0, v58, s[0:1]
	s_waitcnt lgkmcnt(0)
	s_barrier
	global_load_dword v55, v[51:52], off offset:128
	s_movk_i32 s2, 0x1080
	v_add_co_u32_e64 v51, s[0:1], s2, v57
	v_addc_co_u32_e64 v52, s[0:1], 0, v58, s[0:1]
	global_load_dword v57, v[51:52], off offset:704
	global_load_dword v58, v[51:52], off offset:2112
	;; [unrolled: 1-line block ×5, first 2 shown]
	ds_read2_b32 v[53:54], v32 offset1:176
	v_add_u32_e32 v51, 0x800, v32
	v_add_u32_e32 v52, 0x200, v32
	s_waitcnt lgkmcnt(0)
	v_lshrrev_b32_e32 v56, 16, v53
	v_lshrrev_b32_e32 v64, 16, v54
	s_waitcnt vmcnt(5)
	v_mul_f16_sdwa v65, v56, v55 dst_sel:DWORD dst_unused:UNUSED_PAD src0_sel:DWORD src1_sel:WORD_1
	v_mul_f16_sdwa v66, v53, v55 dst_sel:DWORD dst_unused:UNUSED_PAD src0_sel:DWORD src1_sel:WORD_1
	v_fma_f16 v53, v53, v55, -v65
	v_fma_f16 v55, v56, v55, v66
	v_pack_b32_f16 v53, v53, v55
	s_waitcnt vmcnt(4)
	v_mul_f16_sdwa v67, v64, v57 dst_sel:DWORD dst_unused:UNUSED_PAD src0_sel:DWORD src1_sel:WORD_1
	ds_write_b32 v32, v53
	v_mul_f16_sdwa v68, v54, v57 dst_sel:DWORD dst_unused:UNUSED_PAD src0_sel:DWORD src1_sel:WORD_1
	ds_read2_b32 v[55:56], v62 offset0:32 offset1:208
	v_fma_f16 v65, v54, v57, -v67
	ds_read2_b32 v[53:54], v63 offset0:64 offset1:240
	v_fma_f16 v57, v64, v57, v68
	v_pack_b32_f16 v57, v65, v57
	s_waitcnt lgkmcnt(1)
	v_lshrrev_b32_e32 v64, 16, v56
	s_waitcnt vmcnt(3)
	v_mul_f16_sdwa v65, v56, v58 dst_sel:DWORD dst_unused:UNUSED_PAD src0_sel:DWORD src1_sel:WORD_1
	s_waitcnt lgkmcnt(0)
	v_lshrrev_b32_e32 v66, 16, v53
	s_waitcnt vmcnt(2)
	v_mul_f16_sdwa v67, v53, v59 dst_sel:DWORD dst_unused:UNUSED_PAD src0_sel:DWORD src1_sel:WORD_1
	v_lshrrev_b32_e32 v68, 16, v55
	s_waitcnt vmcnt(0)
	v_mul_f16_sdwa v69, v55, v61 dst_sel:DWORD dst_unused:UNUSED_PAD src0_sel:DWORD src1_sel:WORD_1
	v_lshrrev_b32_e32 v70, 16, v54
	v_mul_f16_sdwa v71, v54, v60 dst_sel:DWORD dst_unused:UNUSED_PAD src0_sel:DWORD src1_sel:WORD_1
	v_mul_f16_sdwa v72, v64, v58 dst_sel:DWORD dst_unused:UNUSED_PAD src0_sel:DWORD src1_sel:WORD_1
	v_fma_f16 v64, v64, v58, v65
	v_mul_f16_sdwa v65, v66, v59 dst_sel:DWORD dst_unused:UNUSED_PAD src0_sel:DWORD src1_sel:WORD_1
	v_fma_f16 v66, v66, v59, v67
	;; [unrolled: 2-line block ×4, first 2 shown]
	v_fma_f16 v56, v56, v58, -v72
	v_fma_f16 v53, v53, v59, -v65
	;; [unrolled: 1-line block ×4, first 2 shown]
	v_pack_b32_f16 v56, v56, v64
	v_pack_b32_f16 v53, v53, v66
	;; [unrolled: 1-line block ×4, first 2 shown]
	ds_write2_b32 v51, v56, v53 offset0:16 offset1:192
	ds_write2_b32 v52, v57, v55 offset0:48 offset1:224
	ds_write_b32 v32, v54 offset:3520
	s_waitcnt lgkmcnt(0)
	s_barrier
	ds_read2_b32 v[53:54], v32 offset1:176
	ds_read2_b32 v[55:56], v62 offset0:32 offset1:208
	ds_read2_b32 v[57:58], v63 offset0:64 offset1:240
	s_waitcnt lgkmcnt(0)
	s_barrier
	v_pk_add_f16 v59, v53, v56 neg_lo:[0,1] neg_hi:[0,1]
	v_pk_add_f16 v57, v54, v57 neg_lo:[0,1] neg_hi:[0,1]
	;; [unrolled: 1-line block ×3, first 2 shown]
	v_pk_fma_f16 v58, v53, 2.0, v59 op_sel_hi:[1,0,1] neg_lo:[0,0,1] neg_hi:[0,0,1]
	v_pk_fma_f16 v56, v54, 2.0, v57 op_sel_hi:[1,0,1] neg_lo:[0,0,1] neg_hi:[0,0,1]
	;; [unrolled: 1-line block ×3, first 2 shown]
	ds_write_b64 v22, v[58:59]
	ds_write_b64 v20, v[56:57]
	ds_write_b64 v19, v[60:61]
	s_waitcnt lgkmcnt(0)
	s_barrier
	ds_read2_b32 v[19:20], v32 offset1:176
	ds_read2_b32 v[53:54], v62 offset0:32 offset1:208
	ds_read2_b32 v[55:56], v63 offset0:64 offset1:240
	s_waitcnt lgkmcnt(0)
	s_barrier
	v_lshrrev_b32_e32 v22, 16, v19
	v_lshrrev_b32_e32 v57, 16, v54
	v_lshrrev_b32_e32 v59, 16, v55
	v_mul_f16_sdwa v64, v21, v54 dst_sel:DWORD dst_unused:UNUSED_PAD src0_sel:WORD_1 src1_sel:DWORD
	v_mul_f16_sdwa v65, v21, v57 dst_sel:DWORD dst_unused:UNUSED_PAD src0_sel:WORD_1 src1_sel:DWORD
	v_fma_f16 v57, v21, v57, -v64
	v_mul_f16_sdwa v64, v21, v59 dst_sel:DWORD dst_unused:UNUSED_PAD src0_sel:WORD_1 src1_sel:DWORD
	v_lshrrev_b32_e32 v61, 16, v56
	v_fma_f16 v64, v21, v55, v64
	v_mul_f16_sdwa v55, v21, v55 dst_sel:DWORD dst_unused:UNUSED_PAD src0_sel:WORD_1 src1_sel:DWORD
	v_fma_f16 v55, v21, v59, -v55
	v_mul_f16_sdwa v59, v21, v61 dst_sel:DWORD dst_unused:UNUSED_PAD src0_sel:WORD_1 src1_sel:DWORD
	v_fma_f16 v54, v21, v54, v65
	v_fma_f16 v59, v21, v56, v59
	v_mul_f16_sdwa v56, v21, v56 dst_sel:DWORD dst_unused:UNUSED_PAD src0_sel:WORD_1 src1_sel:DWORD
	v_lshrrev_b32_e32 v58, 16, v20
	v_fma_f16 v21, v21, v61, -v56
	v_sub_f16_e32 v54, v19, v54
	v_sub_f16_e32 v56, v22, v57
	v_lshrrev_b32_e32 v60, 16, v53
	v_fma_f16 v19, v19, 2.0, -v54
	v_fma_f16 v22, v22, 2.0, -v56
	v_sub_f16_e32 v57, v20, v64
	v_sub_f16_e32 v55, v58, v55
	v_fma_f16 v20, v20, 2.0, -v57
	v_fma_f16 v58, v58, 2.0, -v55
	v_sub_f16_e32 v59, v53, v59
	v_sub_f16_e32 v21, v60, v21
	v_pack_b32_f16 v19, v19, v22
	v_pack_b32_f16 v22, v54, v56
	v_fma_f16 v53, v53, 2.0, -v59
	v_fma_f16 v60, v60, 2.0, -v21
	ds_write2_b32 v24, v19, v22 offset1:2
	v_pack_b32_f16 v19, v20, v58
	v_pack_b32_f16 v20, v57, v55
	ds_write2_b32 v34, v19, v20 offset1:2
	v_pack_b32_f16 v19, v53, v60
	v_pack_b32_f16 v20, v59, v21
	ds_write2_b32 v23, v19, v20 offset1:2
	s_waitcnt lgkmcnt(0)
	s_barrier
	ds_read2_b32 v[19:20], v32 offset1:176
	ds_read2_b32 v[21:22], v62 offset0:32 offset1:208
	ds_read2_b32 v[23:24], v63 offset0:64 offset1:240
	s_waitcnt lgkmcnt(0)
	s_barrier
	v_lshrrev_b32_e32 v34, 16, v19
	v_lshrrev_b32_e32 v53, 16, v22
	v_mul_f16_sdwa v58, v35, v53 dst_sel:DWORD dst_unused:UNUSED_PAD src0_sel:WORD_1 src1_sel:DWORD
	v_lshrrev_b32_e32 v55, 16, v23
	v_fma_f16 v58, v35, v22, v58
	v_mul_f16_sdwa v22, v35, v22 dst_sel:DWORD dst_unused:UNUSED_PAD src0_sel:WORD_1 src1_sel:DWORD
	v_fma_f16 v22, v35, v53, -v22
	v_mul_f16_sdwa v53, v35, v55 dst_sel:DWORD dst_unused:UNUSED_PAD src0_sel:WORD_1 src1_sel:DWORD
	v_lshrrev_b32_e32 v57, 16, v24
	v_fma_f16 v53, v35, v23, v53
	v_mul_f16_sdwa v23, v35, v23 dst_sel:DWORD dst_unused:UNUSED_PAD src0_sel:WORD_1 src1_sel:DWORD
	v_fma_f16 v23, v35, v55, -v23
	v_mul_f16_sdwa v55, v35, v57 dst_sel:DWORD dst_unused:UNUSED_PAD src0_sel:WORD_1 src1_sel:DWORD
	v_fma_f16 v55, v35, v24, v55
	v_mul_f16_sdwa v24, v35, v24 dst_sel:DWORD dst_unused:UNUSED_PAD src0_sel:WORD_1 src1_sel:DWORD
	v_lshrrev_b32_e32 v54, 16, v20
	v_fma_f16 v24, v35, v57, -v24
	v_sub_f16_e32 v35, v19, v58
	v_sub_f16_e32 v22, v34, v22
	v_lshrrev_b32_e32 v56, 16, v21
	v_fma_f16 v19, v19, 2.0, -v35
	v_fma_f16 v34, v34, 2.0, -v22
	v_sub_f16_e32 v53, v20, v53
	v_sub_f16_e32 v23, v54, v23
	v_fma_f16 v20, v20, 2.0, -v53
	v_fma_f16 v54, v54, 2.0, -v23
	v_sub_f16_e32 v55, v21, v55
	v_sub_f16_e32 v24, v56, v24
	v_pack_b32_f16 v19, v19, v34
	v_pack_b32_f16 v22, v35, v22
	v_fma_f16 v21, v21, 2.0, -v55
	v_fma_f16 v56, v56, 2.0, -v24
	ds_write2_b32 v37, v19, v22 offset1:4
	v_pack_b32_f16 v19, v20, v54
	v_pack_b32_f16 v20, v53, v23
	ds_write2_b32 v38, v19, v20 offset1:4
	v_pack_b32_f16 v19, v21, v56
	v_pack_b32_f16 v20, v55, v24
	ds_write2_b32 v36, v19, v20 offset1:4
	s_waitcnt lgkmcnt(0)
	s_barrier
	ds_read2_b32 v[21:22], v32 offset1:176
	ds_read2_b32 v[36:37], v62 offset0:32 offset1:208
	ds_read2_b32 v[19:20], v63 offset0:64 offset1:240
	s_waitcnt lgkmcnt(0)
	s_barrier
	v_lshrrev_b32_e32 v23, 16, v21
	v_lshrrev_b32_e32 v24, 16, v37
	v_mul_f16_sdwa v54, v39, v24 dst_sel:DWORD dst_unused:UNUSED_PAD src0_sel:WORD_1 src1_sel:DWORD
	v_lshrrev_b32_e32 v34, 16, v19
	v_fma_f16 v54, v39, v37, v54
	v_mul_f16_sdwa v37, v39, v37 dst_sel:DWORD dst_unused:UNUSED_PAD src0_sel:WORD_1 src1_sel:DWORD
	v_fma_f16 v24, v39, v24, -v37
	v_mul_f16_sdwa v37, v39, v34 dst_sel:DWORD dst_unused:UNUSED_PAD src0_sel:WORD_1 src1_sel:DWORD
	v_lshrrev_b32_e32 v38, 16, v20
	v_fma_f16 v37, v39, v19, v37
	v_mul_f16_sdwa v19, v39, v19 dst_sel:DWORD dst_unused:UNUSED_PAD src0_sel:WORD_1 src1_sel:DWORD
	v_fma_f16 v55, v39, v34, -v19
	v_mul_f16_sdwa v19, v39, v38 dst_sel:DWORD dst_unused:UNUSED_PAD src0_sel:WORD_1 src1_sel:DWORD
	v_lshrrev_b32_e32 v35, 16, v22
	v_fma_f16 v56, v39, v20, v19
	v_mul_f16_sdwa v19, v39, v20 dst_sel:DWORD dst_unused:UNUSED_PAD src0_sel:WORD_1 src1_sel:DWORD
	v_lshrrev_b32_e32 v53, 16, v36
	v_fma_f16 v57, v39, v38, -v19
	v_sub_f16_e32 v20, v21, v54
	v_sub_f16_e32 v39, v23, v24
	;; [unrolled: 1-line block ×4, first 2 shown]
	v_fma_f16 v19, v21, 2.0, -v20
	v_fma_f16 v34, v23, 2.0, -v39
	;; [unrolled: 1-line block ×4, first 2 shown]
	v_sub_f16_e32 v22, v36, v56
	v_sub_f16_e32 v35, v53, v57
	v_fma_f16 v21, v36, 2.0, -v22
	v_fma_f16 v36, v53, 2.0, -v35
	v_pack_b32_f16 v53, v19, v34
	v_pack_b32_f16 v54, v20, v39
	ds_write2_b32 v41, v53, v54 offset1:8
	v_pack_b32_f16 v41, v23, v38
	v_pack_b32_f16 v53, v24, v37
	ds_write2_b32 v42, v41, v53 offset1:8
	;; [unrolled: 3-line block ×3, first 2 shown]
	s_waitcnt lgkmcnt(0)
	s_barrier
	s_and_saveexec_b64 s[0:1], vcc
	s_cbranch_execz .LBB0_7
; %bb.6:
	v_add_u32_e32 v15, 0x400, v32
	v_add_u32_e32 v17, 0xc00, v32
	ds_read2_b32 v[19:20], v32 offset1:96
	ds_read2_b32 v[23:24], v52 offset0:64 offset1:160
	ds_read2_b32 v[21:22], v15 offset0:128 offset1:224
	;; [unrolled: 1-line block ×3, first 2 shown]
	ds_read2_b32 v[17:18], v17 offset1:96
	ds_read_b32 v49, v32 offset:3840
	s_waitcnt lgkmcnt(5)
	v_lshrrev_b32_e32 v34, 16, v19
	v_lshrrev_b32_e32 v39, 16, v20
	s_waitcnt lgkmcnt(4)
	v_lshrrev_b32_e32 v38, 16, v23
	v_lshrrev_b32_e32 v37, 16, v24
	;; [unrolled: 3-line block ×5, first 2 shown]
	s_waitcnt lgkmcnt(0)
	v_lshrrev_b32_e32 v50, 16, v49
.LBB0_7:
	s_or_b64 exec, exec, s[0:1]
	s_barrier
	s_and_saveexec_b64 s[0:1], vcc
	s_cbranch_execz .LBB0_9
; %bb.8:
	v_mul_f16_sdwa v41, v0, v20 dst_sel:DWORD dst_unused:UNUSED_PAD src0_sel:WORD_1 src1_sel:DWORD
	v_mul_f16_sdwa v40, v14, v49 dst_sel:DWORD dst_unused:UNUSED_PAD src0_sel:WORD_1 src1_sel:DWORD
	v_fma_f16 v41, v0, v39, -v41
	v_mul_f16_sdwa v39, v0, v39 dst_sel:DWORD dst_unused:UNUSED_PAD src0_sel:WORD_1 src1_sel:DWORD
	v_fma_f16 v40, v14, v50, -v40
	v_fma_f16 v0, v0, v20, v39
	v_mul_f16_sdwa v20, v14, v50 dst_sel:DWORD dst_unused:UNUSED_PAD src0_sel:WORD_1 src1_sel:DWORD
	v_mul_f16_sdwa v50, v1, v23 dst_sel:DWORD dst_unused:UNUSED_PAD src0_sel:WORD_1 src1_sel:DWORD
	v_fma_f16 v14, v14, v49, v20
	v_mul_f16_sdwa v49, v13, v18 dst_sel:DWORD dst_unused:UNUSED_PAD src0_sel:WORD_1 src1_sel:DWORD
	v_fma_f16 v50, v1, v38, -v50
	v_mul_f16_sdwa v38, v1, v38 dst_sel:DWORD dst_unused:UNUSED_PAD src0_sel:WORD_1 src1_sel:DWORD
	v_add_f16_e32 v42, v40, v41
	v_fma_f16 v49, v13, v48, -v49
	v_fma_f16 v1, v1, v23, v38
	v_mul_f16_sdwa v23, v13, v48 dst_sel:DWORD dst_unused:UNUSED_PAD src0_sel:WORD_1 src1_sel:DWORD
	v_mul_f16_e32 v51, 0xbbad, v42
	v_sub_f16_e32 v20, v0, v14
	s_movk_i32 s12, 0x3482
	v_add_f16_e32 v52, v49, v50
	v_fma_f16 v13, v13, v18, v23
	v_fma_f16 v39, v20, s12, v51
	v_mul_f16_e32 v53, 0x3abb, v52
	v_sub_f16_e32 v18, v1, v13
	s_mov_b32 s7, 0xb853
	v_add_f16_e32 v39, v34, v39
	v_fma_f16 v23, v18, s7, v53
	v_add_f16_e32 v23, v23, v39
	v_mul_f16_sdwa v39, v2, v24 dst_sel:DWORD dst_unused:UNUSED_PAD src0_sel:WORD_1 src1_sel:DWORD
	v_mul_f16_sdwa v38, v7, v17 dst_sel:DWORD dst_unused:UNUSED_PAD src0_sel:WORD_1 src1_sel:DWORD
	v_fma_f16 v39, v2, v37, -v39
	v_mul_f16_sdwa v37, v2, v37 dst_sel:DWORD dst_unused:UNUSED_PAD src0_sel:WORD_1 src1_sel:DWORD
	v_fma_f16 v38, v7, v47, -v38
	v_fma_f16 v2, v2, v24, v37
	v_mul_f16_sdwa v24, v7, v47 dst_sel:DWORD dst_unused:UNUSED_PAD src0_sel:WORD_1 src1_sel:DWORD
	v_add_f16_e32 v48, v38, v39
	v_fma_f16 v7, v7, v17, v24
	v_mul_f16_e32 v54, 0xb93d, v48
	v_sub_f16_e32 v17, v2, v7
	s_movk_i32 s21, 0x3a0c
	v_fma_f16 v24, v17, s21, v54
	v_mul_f16_sdwa v37, v3, v21 dst_sel:DWORD dst_unused:UNUSED_PAD src0_sel:WORD_1 src1_sel:DWORD
	v_add_f16_e32 v23, v24, v23
	v_mul_f16_sdwa v24, v6, v16 dst_sel:DWORD dst_unused:UNUSED_PAD src0_sel:WORD_1 src1_sel:DWORD
	v_fma_f16 v37, v3, v36, -v37
	v_mul_f16_sdwa v36, v3, v36 dst_sel:DWORD dst_unused:UNUSED_PAD src0_sel:WORD_1 src1_sel:DWORD
	v_fma_f16 v24, v6, v46, -v24
	v_fma_f16 v3, v3, v21, v36
	v_mul_f16_sdwa v21, v6, v46 dst_sel:DWORD dst_unused:UNUSED_PAD src0_sel:WORD_1 src1_sel:DWORD
	v_add_f16_e32 v47, v24, v37
	v_fma_f16 v6, v6, v16, v21
	v_mul_f16_e32 v55, 0x36a6, v47
	v_sub_f16_e32 v16, v3, v6
	s_mov_b32 s15, 0xbb47
	v_fma_f16 v21, v16, s15, v55
	v_mul_f16_sdwa v36, v4, v22 dst_sel:DWORD dst_unused:UNUSED_PAD src0_sel:WORD_1 src1_sel:DWORD
	v_add_f16_e32 v21, v21, v23
	v_mul_f16_sdwa v23, v5, v15 dst_sel:DWORD dst_unused:UNUSED_PAD src0_sel:WORD_1 src1_sel:DWORD
	v_fma_f16 v36, v4, v35, -v36
	v_mul_f16_sdwa v35, v4, v35 dst_sel:DWORD dst_unused:UNUSED_PAD src0_sel:WORD_1 src1_sel:DWORD
	v_fma_f16 v23, v5, v45, -v23
	v_fma_f16 v4, v4, v22, v35
	v_mul_f16_sdwa v22, v5, v45 dst_sel:DWORD dst_unused:UNUSED_PAD src0_sel:WORD_1 src1_sel:DWORD
	v_add_f16_e32 v46, v23, v36
	v_fma_f16 v5, v5, v15, v22
	v_mul_f16_e32 v56, 0xb08e, v46
	v_sub_f16_e32 v15, v4, v5
	s_movk_i32 s18, 0x3beb
	v_fma_f16 v22, v15, s18, v56
	v_sub_f16_e32 v35, v41, v40
	s_mov_b32 s2, 0xbbad
	v_add_f16_e32 v21, v22, v21
	v_add_f16_e32 v22, v14, v0
	v_mul_f16_e32 v45, 0xb482, v35
	v_sub_f16_e32 v59, v50, v49
	s_movk_i32 s3, 0x3abb
	v_fma_f16 v57, v22, s2, v45
	v_add_f16_e32 v58, v13, v1
	v_mul_f16_e32 v60, 0x3853, v59
	v_add_f16_e32 v57, v19, v57
	v_fma_f16 v61, v58, s3, v60
	v_sub_f16_e32 v62, v39, v38
	s_mov_b32 s6, 0xb93d
	v_add_f16_e32 v57, v61, v57
	v_add_f16_e32 v61, v7, v2
	v_mul_f16_e32 v63, 0xba0c, v62
	v_fma_f16 v64, v61, s6, v63
	v_sub_f16_e32 v65, v37, v24
	s_movk_i32 s13, 0x36a6
	v_add_f16_e32 v57, v64, v57
	v_add_f16_e32 v64, v6, v3
	v_mul_f16_e32 v66, 0x3b47, v65
	v_fma_f16 v67, v64, s13, v66
	v_sub_f16_e32 v68, v36, v23
	s_mov_b32 s14, 0xb08e
	v_add_f16_e32 v57, v67, v57
	v_add_f16_e32 v67, v5, v4
	v_mul_f16_e32 v69, 0xbbeb, v68
	v_fma_f16 v70, v67, s14, v69
	v_add_f16_e32 v57, v70, v57
	v_mul_f16_e32 v70, 0xb93d, v42
	s_mov_b32 s20, 0xbbeb
	v_fma_f16 v71, v20, s21, v70
	v_mul_f16_e32 v72, 0xb08e, v52
	v_add_f16_e32 v71, v34, v71
	v_fma_f16 v73, v18, s20, v72
	s_movk_i32 s19, 0x3853
	v_add_f16_e32 v71, v73, v71
	v_mul_f16_e32 v73, 0x3abb, v48
	v_fma_f16 v74, v17, s19, v73
	v_add_f16_e32 v71, v74, v71
	v_mul_f16_e32 v74, 0xbbad, v47
	v_fma_f16 v75, v16, s12, v74
	;; [unrolled: 3-line block ×4, first 2 shown]
	v_mul_f16_e32 v78, 0x3beb, v59
	v_add_f16_e32 v77, v19, v77
	v_fma_f16 v79, v58, s14, v78
	v_add_f16_e32 v77, v79, v77
	v_mul_f16_e32 v79, 0xb853, v62
	v_fma_f16 v80, v61, s3, v79
	v_add_f16_e32 v77, v80, v77
	v_mul_f16_e32 v80, 0xb482, v65
	;; [unrolled: 3-line block ×4, first 2 shown]
	s_mov_b32 s16, 0xb482
	v_fma_f16 v83, v20, s18, v82
	v_mul_f16_e32 v84, 0xbbad, v52
	v_add_f16_e32 v83, v34, v83
	v_fma_f16 v85, v18, s16, v84
	v_add_f16_e32 v83, v85, v83
	v_mul_f16_e32 v85, 0x36a6, v48
	v_fma_f16 v86, v17, s15, v85
	v_add_f16_e32 v0, v19, v0
	v_add_f16_e32 v83, v86, v83
	v_mul_f16_e32 v86, 0x3abb, v47
	v_add_f16_e32 v0, v1, v0
	v_fma_f16 v87, v16, s19, v86
	v_add_f16_e32 v0, v2, v0
	v_fma_f16 v2, v20, s16, v51
	s_mov_b32 s17, 0xba0c
	v_add_f16_e32 v83, v87, v83
	v_mul_f16_e32 v87, 0xb93d, v46
	v_add_f16_e32 v0, v3, v0
	v_add_f16_e32 v2, v34, v2
	v_fma_f16 v3, v18, s19, v53
	s_movk_i32 s22, 0x3b47
	v_fma_f16 v88, v15, s21, v87
	v_add_f16_e32 v2, v3, v2
	v_fma_f16 v3, v17, s17, v54
	v_add_f16_e32 v83, v88, v83
	v_mul_f16_e32 v88, 0xbbeb, v35
	v_add_f16_e32 v2, v3, v2
	v_fma_f16 v3, v16, s22, v55
	v_fma_f16 v89, v22, s14, v88
	v_mul_f16_e32 v90, 0x3482, v59
	v_add_f16_e32 v2, v3, v2
	v_fma_f16 v3, v15, s20, v56
	v_add_f16_e32 v89, v19, v89
	v_fma_f16 v91, v58, s2, v90
	v_add_f16_e32 v2, v3, v2
	v_fma_f16 v3, v22, s2, -v45
	v_add_f16_e32 v89, v91, v89
	v_mul_f16_e32 v91, 0x3b47, v62
	v_add_f16_e32 v0, v4, v0
	v_add_f16_e32 v3, v19, v3
	v_fma_f16 v4, v58, s3, -v60
	v_fma_f16 v92, v61, s13, v91
	v_add_f16_e32 v3, v4, v3
	v_fma_f16 v4, v61, s6, -v63
	v_add_f16_e32 v89, v92, v89
	v_mul_f16_e32 v92, 0xb853, v65
	v_add_f16_e32 v3, v4, v3
	v_fma_f16 v4, v64, s13, -v66
	v_fma_f16 v93, v64, s3, v92
	v_add_f16_e32 v3, v4, v3
	v_fma_f16 v4, v67, s14, -v69
	v_add_f16_e32 v89, v93, v89
	v_mul_f16_e32 v93, 0xba0c, v68
	v_add_f16_e32 v3, v4, v3
	v_fma_f16 v4, v20, s17, v70
	v_fma_f16 v94, v67, s6, v93
	v_add_f16_e32 v0, v5, v0
	v_add_f16_e32 v4, v34, v4
	v_fma_f16 v5, v18, s18, v72
	v_add_f16_e32 v89, v94, v89
	v_mul_f16_e32 v94, 0x36a6, v42
	v_add_f16_e32 v4, v5, v4
	v_fma_f16 v5, v17, s7, v73
	v_fma_f16 v95, v20, s22, v94
	v_mul_f16_e32 v96, 0xb93d, v52
	v_add_f16_e32 v4, v5, v4
	v_fma_f16 v5, v16, s16, v74
	v_add_f16_e32 v95, v34, v95
	v_fma_f16 v97, v18, s21, v96
	;; [unrolled: 2-line block ×3, first 2 shown]
	v_add_f16_e32 v95, v97, v95
	v_mul_f16_e32 v97, 0xbbad, v48
	v_add_f16_e32 v4, v5, v4
	v_fma_f16 v5, v22, s6, -v76
	v_fma_f16 v98, v17, s16, v97
	v_add_f16_e32 v0, v6, v0
	v_add_f16_e32 v5, v19, v5
	v_fma_f16 v6, v58, s14, -v78
	v_add_f16_e32 v95, v98, v95
	v_mul_f16_e32 v98, 0xb08e, v47
	v_add_f16_e32 v5, v6, v5
	v_fma_f16 v6, v61, s3, -v79
	v_fma_f16 v99, v16, s20, v98
	v_add_f16_e32 v5, v6, v5
	v_fma_f16 v6, v64, s2, -v80
	v_add_f16_e32 v95, v99, v95
	v_mul_f16_e32 v99, 0x3abb, v46
	v_add_f16_e32 v5, v6, v5
	v_fma_f16 v6, v67, s13, -v81
	v_fma_f16 v100, v15, s7, v99
	v_add_f16_e32 v5, v6, v5
	v_fma_f16 v6, v20, s20, v82
	v_add_f16_e32 v95, v100, v95
	v_mul_f16_e32 v100, 0xbb47, v35
	v_add_f16_e32 v0, v7, v0
	v_add_f16_e32 v6, v34, v6
	v_fma_f16 v7, v18, s12, v84
	v_fma_f16 v101, v22, s13, v100
	v_mul_f16_e32 v102, 0xba0c, v59
	v_add_f16_e32 v6, v7, v6
	v_fma_f16 v7, v17, s22, v85
	v_add_f16_e32 v101, v19, v101
	v_fma_f16 v103, v58, s6, v102
	;; [unrolled: 2-line block ×3, first 2 shown]
	v_add_f16_e32 v101, v103, v101
	v_mul_f16_e32 v103, 0x3482, v62
	v_add_f16_e32 v6, v7, v6
	v_fma_f16 v7, v15, s17, v87
	v_fma_f16 v104, v61, s2, v103
	v_add_f16_e32 v6, v7, v6
	v_fma_f16 v7, v22, s14, -v88
	v_add_f16_e32 v101, v104, v101
	v_mul_f16_e32 v104, 0x3beb, v65
	v_add_f16_e32 v0, v13, v0
	v_add_f16_e32 v7, v19, v7
	v_fma_f16 v13, v58, s2, -v90
	v_fma_f16 v105, v64, s14, v104
	v_add_f16_e32 v7, v13, v7
	v_fma_f16 v13, v61, s13, -v91
	v_add_f16_e32 v101, v105, v101
	v_mul_f16_e32 v105, 0x3853, v68
	v_add_f16_e32 v7, v13, v7
	v_fma_f16 v13, v64, s3, -v92
	v_fma_f16 v106, v67, s3, v105
	v_mul_f16_e32 v42, 0x3abb, v42
	v_add_f16_e32 v7, v13, v7
	v_fma_f16 v13, v67, s6, -v93
	v_add_f16_e32 v101, v106, v101
	v_fma_f16 v106, v20, s19, v42
	v_mul_f16_e32 v52, 0x36a6, v52
	v_add_f16_e32 v7, v13, v7
	v_fma_f16 v13, v20, s15, v94
	v_fma_f16 v20, v20, s7, v42
	v_add_f16_e32 v106, v34, v106
	v_fma_f16 v107, v18, s22, v52
	v_mul_f16_e32 v48, 0xb08e, v48
	v_add_f16_e32 v0, v14, v0
	v_add_f16_e32 v13, v34, v13
	v_fma_f16 v14, v18, s17, v96
	v_add_f16_e32 v20, v34, v20
	v_fma_f16 v18, v18, s15, v52
	v_add_f16_e32 v106, v107, v106
	v_fma_f16 v107, v17, s18, v48
	v_mul_f16_e32 v47, 0xb93d, v47
	v_add_f16_e32 v1, v41, v34
	v_add_f16_e32 v13, v14, v13
	v_fma_f16 v14, v17, s12, v97
	v_add_f16_e32 v18, v18, v20
	;; [unrolled: 8-line block ×4, first 2 shown]
	v_fma_f16 v15, v15, s16, v46
	v_mul_f16_e32 v59, 0xbb47, v59
	v_add_f16_e32 v1, v37, v1
	v_add_f16_e32 v15, v15, v16
	v_fma_f16 v16, v22, s3, -v35
	v_add_f16_e32 v106, v107, v106
	v_fma_f16 v107, v22, s3, v35
	v_mul_f16_e32 v62, 0xbbeb, v62
	v_add_f16_e32 v1, v36, v1
	v_add_f16_e32 v16, v19, v16
	v_fma_f16 v17, v58, s13, -v59
	v_add_f16_e32 v107, v19, v107
	;; [unrolled: 6-line block ×4, first 2 shown]
	v_fma_f16 v108, v64, s6, v65
	v_add_f16_e32 v1, v38, v1
	v_add_f16_e32 v16, v17, v16
	v_fma_f16 v17, v67, s2, -v68
	v_add_f16_e32 v107, v108, v107
	v_fma_f16 v108, v67, s2, v68
	v_add_f16_e32 v1, v49, v1
	v_add_f16_e32 v13, v14, v13
	v_fma_f16 v14, v22, s13, -v100
	v_add_f16_e32 v16, v17, v16
	v_mul_u32_u24_e32 v17, 0xb0, v43
	v_add_f16_e32 v107, v108, v107
	v_add_f16_e32 v1, v40, v1
	;; [unrolled: 1-line block ×3, first 2 shown]
	v_fma_f16 v23, v58, s6, -v102
	v_or_b32_e32 v17, v17, v33
	v_add_f16_e32 v14, v23, v14
	v_fma_f16 v23, v61, s2, -v103
	v_lshlrev_b32_e32 v17, 2, v17
	v_pack_b32_f16 v0, v0, v1
	v_pack_b32_f16 v1, v107, v106
	v_add_f16_e32 v14, v23, v14
	v_fma_f16 v23, v64, s14, -v104
	ds_write2_b32 v17, v0, v1 offset1:16
	v_pack_b32_f16 v0, v101, v95
	v_pack_b32_f16 v1, v89, v83
	v_add_f16_e32 v14, v23, v14
	v_fma_f16 v23, v67, s3, -v105
	ds_write2_b32 v17, v0, v1 offset0:32 offset1:48
	v_pack_b32_f16 v0, v77, v71
	v_pack_b32_f16 v1, v57, v21
	v_add_f16_e32 v14, v23, v14
	ds_write2_b32 v17, v0, v1 offset0:64 offset1:80
	v_pack_b32_f16 v0, v3, v2
	v_pack_b32_f16 v1, v5, v4
	ds_write2_b32 v17, v0, v1 offset0:96 offset1:112
	v_pack_b32_f16 v0, v7, v6
	v_pack_b32_f16 v1, v14, v13
	ds_write2_b32 v17, v0, v1 offset0:128 offset1:144
	v_pack_b32_f16 v0, v16, v15
	ds_write_b32 v17, v0 offset:640
.LBB0_9:
	s_or_b64 exec, exec, s[0:1]
	s_waitcnt lgkmcnt(0)
	s_barrier
	ds_read2_b32 v[0:1], v32 offset1:176
	v_add_u32_e32 v13, 0x500, v32
	ds_read2_b32 v[2:3], v13 offset0:32 offset1:208
	v_add_u32_e32 v14, 0xa00, v32
	ds_read2_b32 v[4:5], v14 offset0:64 offset1:240
	s_waitcnt lgkmcnt(2)
	v_lshrrev_b32_e32 v7, 16, v1
	v_mul_f16_sdwa v19, v8, v7 dst_sel:DWORD dst_unused:UNUSED_PAD src0_sel:WORD_1 src1_sel:DWORD
	s_waitcnt lgkmcnt(1)
	v_lshrrev_b32_e32 v15, 16, v2
	v_fma_f16 v19, v8, v1, v19
	v_mul_f16_sdwa v1, v8, v1 dst_sel:DWORD dst_unused:UNUSED_PAD src0_sel:WORD_1 src1_sel:DWORD
	v_fma_f16 v1, v8, v7, -v1
	v_mul_f16_sdwa v7, v9, v15 dst_sel:DWORD dst_unused:UNUSED_PAD src0_sel:WORD_1 src1_sel:DWORD
	s_waitcnt lgkmcnt(0)
	v_lshrrev_b32_e32 v17, 16, v4
	v_fma_f16 v7, v9, v2, v7
	v_mul_f16_sdwa v2, v9, v2 dst_sel:DWORD dst_unused:UNUSED_PAD src0_sel:WORD_1 src1_sel:DWORD
	v_lshrrev_b32_e32 v16, 16, v3
	v_fma_f16 v2, v9, v15, -v2
	v_mul_f16_sdwa v9, v11, v17 dst_sel:DWORD dst_unused:UNUSED_PAD src0_sel:WORD_1 src1_sel:DWORD
	v_mul_f16_sdwa v8, v10, v16 dst_sel:DWORD dst_unused:UNUSED_PAD src0_sel:WORD_1 src1_sel:DWORD
	v_fma_f16 v9, v11, v4, v9
	v_mul_f16_sdwa v4, v11, v4 dst_sel:DWORD dst_unused:UNUSED_PAD src0_sel:WORD_1 src1_sel:DWORD
	v_lshrrev_b32_e32 v18, 16, v5
	v_fma_f16 v8, v10, v3, v8
	v_mul_f16_sdwa v3, v10, v3 dst_sel:DWORD dst_unused:UNUSED_PAD src0_sel:WORD_1 src1_sel:DWORD
	v_fma_f16 v4, v11, v17, -v4
	v_add_f16_e32 v15, v7, v9
	v_lshrrev_b32_e32 v6, 16, v0
	v_fma_f16 v3, v10, v16, -v3
	v_mul_f16_sdwa v10, v44, v18 dst_sel:DWORD dst_unused:UNUSED_PAD src0_sel:WORD_1 src1_sel:DWORD
	v_add_f16_e32 v11, v0, v7
	v_fma_f16 v0, v15, -0.5, v0
	v_sub_f16_e32 v15, v2, v4
	s_mov_b32 s0, 0xbaee
	s_movk_i32 s1, 0x3aee
	v_fma_f16 v10, v44, v5, v10
	v_mul_f16_sdwa v5, v44, v5 dst_sel:DWORD dst_unused:UNUSED_PAD src0_sel:WORD_1 src1_sel:DWORD
	v_fma_f16 v16, v15, s0, v0
	v_fma_f16 v0, v15, s1, v0
	v_add_f16_e32 v15, v6, v2
	v_fma_f16 v5, v44, v18, -v5
	v_add_f16_e32 v15, v15, v4
	v_add_f16_e32 v2, v2, v4
	v_sub_f16_e32 v4, v7, v9
	v_add_f16_e32 v7, v8, v10
	v_add_f16_e32 v11, v11, v9
	v_fma_f16 v7, v7, -0.5, v19
	v_sub_f16_e32 v9, v3, v5
	v_fma_f16 v17, v9, s0, v7
	v_fma_f16 v7, v9, s1, v7
	v_add_f16_e32 v9, v1, v3
	v_add_f16_e32 v3, v3, v5
	v_fma_f16 v1, v3, -0.5, v1
	v_sub_f16_e32 v3, v8, v10
	v_fma_f16 v2, v2, -0.5, v6
	v_add_f16_e32 v9, v9, v5
	v_fma_f16 v5, v3, s1, v1
	v_fma_f16 v6, v4, s1, v2
	;; [unrolled: 1-line block ×3, first 2 shown]
	v_add_f16_e32 v4, v19, v8
	v_fma_f16 v1, v3, s0, v1
	v_mul_f16_e32 v8, 0xbaee, v5
	v_mul_f16_e32 v5, 0.5, v5
	v_add_f16_e32 v4, v4, v10
	v_fma_f16 v8, v17, 0.5, v8
	v_mul_f16_e32 v18, 0xbaee, v1
	v_fma_f16 v5, v17, s1, v5
	v_mul_f16_e32 v1, -0.5, v1
	v_add_f16_e32 v3, v11, v4
	v_add_f16_e32 v10, v16, v8
	v_fma_f16 v18, v7, -0.5, v18
	v_add_f16_e32 v20, v15, v9
	v_add_f16_e32 v17, v6, v5
	v_fma_f16 v1, v7, s1, v1
	v_add_f16_e32 v19, v0, v18
	v_add_f16_e32 v7, v2, v1
	v_sub_f16_e32 v4, v11, v4
	v_sub_f16_e32 v9, v15, v9
	;; [unrolled: 1-line block ×3, first 2 shown]
	v_pack_b32_f16 v2, v3, v20
	v_pack_b32_f16 v3, v10, v17
	v_sub_f16_e32 v8, v16, v8
	v_sub_f16_e32 v0, v0, v18
	;; [unrolled: 1-line block ×3, first 2 shown]
	ds_write2_b32 v32, v2, v3 offset1:176
	v_pack_b32_f16 v2, v19, v7
	v_pack_b32_f16 v3, v4, v9
	ds_write2_b32 v13, v2, v3 offset0:32 offset1:208
	v_pack_b32_f16 v2, v8, v5
	v_pack_b32_f16 v0, v0, v1
	ds_write2_b32 v14, v2, v0 offset0:64 offset1:240
	s_waitcnt lgkmcnt(0)
	s_barrier
	ds_read2_b32 v[0:1], v32 offset1:176
	s_mov_b32 s2, 0xf07c1f08
	s_mov_b32 s3, 0x3f4f07c1
	s_movk_i32 s6, 0x1ff
	s_movk_i32 s7, 0xffe
	s_waitcnt lgkmcnt(0)
	v_lshrrev_b32_e32 v8, 16, v0
	v_mul_f16_sdwa v2, v31, v8 dst_sel:DWORD dst_unused:UNUSED_PAD src0_sel:WORD_1 src1_sel:DWORD
	v_fma_f16 v2, v31, v0, v2
	v_cvt_f32_f16_e32 v4, v2
	v_mad_u64_u32 v[2:3], s[0:1], s10, v12, 0
	v_mul_f16_sdwa v0, v31, v0 dst_sel:DWORD dst_unused:UNUSED_PAD src0_sel:WORD_1 src1_sel:DWORD
	v_cvt_f64_f32_e32 v[4:5], v4
	v_fma_f16 v0, v31, v8, -v0
	s_movk_i32 s10, 0x40f
	v_mul_f64 v[4:5], v[4:5], s[2:3]
	v_mad_u64_u32 v[6:7], s[0:1], s11, v12, v[3:4]
	v_and_or_b32 v4, v5, s6, v4
	v_cmp_ne_u32_e32 vcc, 0, v4
	v_mov_b32_e32 v3, v6
	v_cndmask_b32_e64 v4, 0, 1, vcc
	v_lshrrev_b32_e32 v6, 8, v5
	v_bfe_u32 v7, v5, 20, 11
	v_and_or_b32 v4, v6, s7, v4
	v_sub_u32_e32 v9, 0x3f1, v7
	v_or_b32_e32 v6, 0x1000, v4
	v_med3_i32 v9, v9, 0, 13
	v_lshrrev_b32_e32 v10, v9, v6
	v_lshlrev_b32_e32 v9, v9, v10
	v_cmp_ne_u32_e32 vcc, v9, v6
	v_cndmask_b32_e64 v6, 0, 1, vcc
	v_add_u32_e32 v9, 0xfffffc10, v7
	v_or_b32_e32 v6, v10, v6
	v_lshl_or_b32 v7, v9, 12, v4
	v_cmp_gt_i32_e32 vcc, 1, v9
	v_cndmask_b32_e32 v6, v7, v6, vcc
	v_and_b32_e32 v7, 7, v6
	v_cmp_lt_i32_e32 vcc, 5, v7
	v_cmp_eq_u32_e64 s[0:1], 3, v7
	v_cvt_f32_f16_e32 v7, v0
	v_lshrrev_b32_e32 v6, 2, v6
	s_or_b64 vcc, s[0:1], vcc
	v_addc_co_u32_e32 v8, vcc, 0, v6, vcc
	v_cvt_f64_f32_e32 v[6:7], v7
	v_mov_b32_e32 v0, 0x7c00
	v_cmp_gt_i32_e32 vcc, 31, v9
	v_cndmask_b32_e32 v8, v0, v8, vcc
	v_mul_f64 v[6:7], v[6:7], s[2:3]
	v_cmp_ne_u32_e32 vcc, 0, v4
	v_cndmask_b32_e64 v4, 0, 1, vcc
	v_lshl_or_b32 v4, v4, 9, v0
	v_cmp_eq_u32_e32 vcc, s10, v9
	v_cndmask_b32_e32 v4, v8, v4, vcc
	v_lshrrev_b32_e32 v5, 16, v5
	s_mov_b32 s11, 0x8000
	v_and_or_b32 v10, v5, s11, v4
	v_and_or_b32 v4, v7, s6, v6
	v_cmp_ne_u32_e32 vcc, 0, v4
	v_cndmask_b32_e64 v4, 0, 1, vcc
	v_lshrrev_b32_e32 v5, 8, v7
	v_bfe_u32 v6, v7, 20, 11
	v_and_or_b32 v4, v5, s7, v4
	v_sub_u32_e32 v8, 0x3f1, v6
	v_or_b32_e32 v5, 0x1000, v4
	v_med3_i32 v8, v8, 0, 13
	v_lshrrev_b32_e32 v9, v8, v5
	v_lshlrev_b32_e32 v8, v8, v9
	v_cmp_ne_u32_e32 vcc, v8, v5
	v_cndmask_b32_e64 v5, 0, 1, vcc
	v_add_u32_e32 v6, 0xfffffc10, v6
	v_or_b32_e32 v5, v9, v5
	v_lshl_or_b32 v8, v6, 12, v4
	v_cmp_gt_i32_e32 vcc, 1, v6
	v_cndmask_b32_e32 v5, v8, v5, vcc
	v_and_b32_e32 v8, 7, v5
	v_cmp_lt_i32_e32 vcc, 5, v8
	v_cmp_eq_u32_e64 s[0:1], 3, v8
	v_lshrrev_b32_e32 v5, 2, v5
	s_or_b64 vcc, s[0:1], vcc
	v_addc_co_u32_e32 v5, vcc, 0, v5, vcc
	v_cmp_gt_i32_e32 vcc, 31, v6
	v_cndmask_b32_e32 v8, v0, v5, vcc
	v_cmp_ne_u32_e32 vcc, 0, v4
	v_cndmask_b32_e64 v4, 0, 1, vcc
	v_lshl_or_b32 v9, v4, 9, v0
	v_cmp_eq_u32_e32 vcc, s10, v6
	v_cndmask_b32_e32 v11, v8, v9, vcc
	ds_read2_b32 v[8:9], v13 offset0:32 offset1:208
	v_mad_u64_u32 v[4:5], s[0:1], s8, v29, 0
	v_lshrrev_b32_e32 v7, 16, v7
	v_and_or_b32 v11, v7, s11, v11
	v_mad_u64_u32 v[5:6], s[0:1], s9, v29, v[5:6]
	s_waitcnt lgkmcnt(0)
	v_lshrrev_b32_e32 v12, 16, v9
	v_mul_f16_sdwa v6, v30, v12 dst_sel:DWORD dst_unused:UNUSED_PAD src0_sel:WORD_1 src1_sel:DWORD
	v_fma_f16 v6, v30, v9, v6
	v_cvt_f32_f16_e32 v6, v6
	v_lshlrev_b64 v[2:3], 2, v[2:3]
	v_and_b32_e32 v10, 0xffff, v10
	v_lshl_or_b32 v10, v11, 16, v10
	v_cvt_f64_f32_e32 v[6:7], v6
	v_mov_b32_e32 v11, s5
	v_add_co_u32_e32 v13, vcc, s4, v2
	v_mul_f64 v[6:7], v[6:7], s[2:3]
	v_addc_co_u32_e32 v11, vcc, v11, v3, vcc
	v_lshlrev_b64 v[2:3], 2, v[4:5]
	v_mul_f16_sdwa v9, v30, v9 dst_sel:DWORD dst_unused:UNUSED_PAD src0_sel:WORD_1 src1_sel:DWORD
	v_add_co_u32_e32 v2, vcc, v13, v2
	v_addc_co_u32_e32 v3, vcc, v11, v3, vcc
	v_and_or_b32 v4, v7, s6, v6
	v_cmp_ne_u32_e32 vcc, 0, v4
	v_cndmask_b32_e64 v4, 0, 1, vcc
	v_lshrrev_b32_e32 v5, 8, v7
	v_and_or_b32 v6, v5, s7, v4
	v_bfe_u32 v5, v7, 20, 11
	global_store_dword v[2:3], v10, off
	v_sub_u32_e32 v10, 0x3f1, v5
	v_or_b32_e32 v4, 0x1000, v6
	v_med3_i32 v10, v10, 0, 13
	v_lshrrev_b32_e32 v11, v10, v4
	v_lshlrev_b32_e32 v10, v10, v11
	v_cmp_ne_u32_e32 vcc, v10, v4
	v_fma_f16 v9, v30, v12, -v9
	v_cndmask_b32_e64 v4, 0, 1, vcc
	v_add_u32_e32 v10, 0xfffffc10, v5
	v_cvt_f32_f16_e32 v9, v9
	v_or_b32_e32 v4, v11, v4
	v_lshl_or_b32 v5, v10, 12, v6
	v_cmp_gt_i32_e32 vcc, 1, v10
	v_cndmask_b32_e32 v4, v5, v4, vcc
	v_and_b32_e32 v5, 7, v4
	v_cmp_lt_i32_e32 vcc, 5, v5
	v_cmp_eq_u32_e64 s[0:1], 3, v5
	v_lshrrev_b32_e32 v11, 2, v4
	v_cvt_f64_f32_e32 v[4:5], v9
	s_or_b64 vcc, s[0:1], vcc
	v_addc_co_u32_e32 v9, vcc, 0, v11, vcc
	v_mul_f64 v[4:5], v[4:5], s[2:3]
	v_cmp_gt_i32_e32 vcc, 31, v10
	v_cndmask_b32_e32 v9, v0, v9, vcc
	v_cmp_ne_u32_e32 vcc, 0, v6
	v_cndmask_b32_e64 v6, 0, 1, vcc
	v_lshl_or_b32 v6, v6, 9, v0
	v_cmp_eq_u32_e32 vcc, s10, v10
	v_cndmask_b32_e32 v6, v9, v6, vcc
	v_and_or_b32 v4, v5, s6, v4
	v_lshrrev_b32_e32 v7, 16, v7
	v_cmp_ne_u32_e32 vcc, 0, v4
	v_and_or_b32 v6, v7, s11, v6
	v_cndmask_b32_e64 v4, 0, 1, vcc
	v_lshrrev_b32_e32 v7, 8, v5
	v_bfe_u32 v9, v5, 20, 11
	v_and_or_b32 v4, v7, s7, v4
	v_sub_u32_e32 v10, 0x3f1, v9
	v_or_b32_e32 v7, 0x1000, v4
	v_med3_i32 v10, v10, 0, 13
	v_lshrrev_b32_e32 v11, v10, v7
	v_lshlrev_b32_e32 v10, v10, v11
	v_cmp_ne_u32_e32 vcc, v10, v7
	v_cndmask_b32_e64 v7, 0, 1, vcc
	v_add_u32_e32 v9, 0xfffffc10, v9
	v_or_b32_e32 v7, v11, v7
	v_lshl_or_b32 v10, v9, 12, v4
	v_cmp_gt_i32_e32 vcc, 1, v9
	v_cndmask_b32_e32 v7, v10, v7, vcc
	v_and_b32_e32 v10, 7, v7
	v_cmp_lt_i32_e32 vcc, 5, v10
	v_cmp_eq_u32_e64 s[0:1], 3, v10
	v_lshrrev_b32_e32 v7, 2, v7
	s_or_b64 vcc, s[0:1], vcc
	v_addc_co_u32_e32 v7, vcc, 0, v7, vcc
	v_cmp_gt_i32_e32 vcc, 31, v9
	v_cndmask_b32_e32 v7, v0, v7, vcc
	v_cmp_ne_u32_e32 vcc, 0, v4
	v_cndmask_b32_e64 v4, 0, 1, vcc
	v_lshl_or_b32 v4, v4, 9, v0
	v_cmp_eq_u32_e32 vcc, s10, v9
	v_cndmask_b32_e32 v4, v7, v4, vcc
	v_lshrrev_b32_e32 v7, 16, v1
	v_mul_f16_sdwa v9, v28, v7 dst_sel:DWORD dst_unused:UNUSED_PAD src0_sel:WORD_1 src1_sel:DWORD
	v_fma_f16 v9, v28, v1, v9
	v_cvt_f32_f16_e32 v9, v9
	v_lshrrev_b32_e32 v5, 16, v5
	v_and_or_b32 v4, v5, s11, v4
	v_and_b32_e32 v5, 0xffff, v6
	v_lshl_or_b32 v6, v4, 16, v5
	v_cvt_f64_f32_e32 v[4:5], v9
	s_mul_i32 s0, s9, 0x840
	s_mul_hi_u32 s4, s8, 0x840
	s_add_i32 s4, s4, s0
	v_mul_f64 v[4:5], v[4:5], s[2:3]
	s_mul_i32 s5, s8, 0x840
	v_mov_b32_e32 v9, s4
	v_add_co_u32_e32 v2, vcc, s5, v2
	v_addc_co_u32_e32 v3, vcc, v3, v9, vcc
	global_store_dword v[2:3], v6, off
	v_and_or_b32 v4, v5, s6, v4
	v_cmp_ne_u32_e32 vcc, 0, v4
	v_cndmask_b32_e64 v4, 0, 1, vcc
	v_lshrrev_b32_e32 v6, 8, v5
	v_bfe_u32 v9, v5, 20, 11
	v_and_or_b32 v4, v6, s7, v4
	v_sub_u32_e32 v10, 0x3f1, v9
	v_or_b32_e32 v6, 0x1000, v4
	v_med3_i32 v10, v10, 0, 13
	v_lshrrev_b32_e32 v11, v10, v6
	v_lshlrev_b32_e32 v10, v10, v11
	v_mul_f16_sdwa v1, v28, v1 dst_sel:DWORD dst_unused:UNUSED_PAD src0_sel:WORD_1 src1_sel:DWORD
	v_cmp_ne_u32_e32 vcc, v10, v6
	v_fma_f16 v1, v28, v7, -v1
	v_cndmask_b32_e64 v6, 0, 1, vcc
	v_add_u32_e32 v9, 0xfffffc10, v9
	v_cvt_f32_f16_e32 v1, v1
	v_or_b32_e32 v6, v11, v6
	v_lshl_or_b32 v10, v9, 12, v4
	v_cmp_gt_i32_e32 vcc, 1, v9
	v_cndmask_b32_e32 v6, v10, v6, vcc
	v_and_b32_e32 v10, 7, v6
	v_cmp_lt_i32_e32 vcc, 5, v10
	v_cmp_eq_u32_e64 s[0:1], 3, v10
	v_lshrrev_b32_e32 v10, 2, v6
	v_cvt_f64_f32_e32 v[6:7], v1
	s_or_b64 vcc, s[0:1], vcc
	v_addc_co_u32_e32 v1, vcc, 0, v10, vcc
	v_mul_f64 v[6:7], v[6:7], s[2:3]
	v_cmp_gt_i32_e32 vcc, 31, v9
	v_cndmask_b32_e32 v1, v0, v1, vcc
	v_cmp_ne_u32_e32 vcc, 0, v4
	v_cndmask_b32_e64 v4, 0, 1, vcc
	v_lshl_or_b32 v4, v4, 9, v0
	v_cmp_eq_u32_e32 vcc, s10, v9
	v_cndmask_b32_e32 v1, v1, v4, vcc
	v_lshrrev_b32_e32 v4, 16, v5
	v_and_or_b32 v1, v4, s11, v1
	v_and_or_b32 v4, v7, s6, v6
	v_cmp_ne_u32_e32 vcc, 0, v4
	v_cndmask_b32_e64 v4, 0, 1, vcc
	v_lshrrev_b32_e32 v5, 8, v7
	v_and_or_b32 v6, v5, s7, v4
	v_bfe_u32 v5, v7, 20, 11
	v_sub_u32_e32 v9, 0x3f1, v5
	v_or_b32_e32 v4, 0x1000, v6
	v_med3_i32 v9, v9, 0, 13
	v_lshrrev_b32_e32 v10, v9, v4
	v_lshlrev_b32_e32 v9, v9, v10
	v_cmp_ne_u32_e32 vcc, v9, v4
	v_cndmask_b32_e64 v4, 0, 1, vcc
	v_add_u32_e32 v9, 0xfffffc10, v5
	v_or_b32_e32 v4, v10, v4
	v_lshl_or_b32 v5, v9, 12, v6
	v_cmp_gt_i32_e32 vcc, 1, v9
	v_cndmask_b32_e32 v4, v5, v4, vcc
	v_and_b32_e32 v5, 7, v4
	v_cmp_lt_i32_e32 vcc, 5, v5
	v_cmp_eq_u32_e64 s[0:1], 3, v5
	v_lshrrev_b32_e32 v4, 2, v4
	s_or_b64 vcc, s[0:1], vcc
	v_addc_co_u32_e32 v10, vcc, 0, v4, vcc
	ds_read2_b32 v[4:5], v14 offset0:64 offset1:240
	v_cmp_gt_i32_e32 vcc, 31, v9
	v_cndmask_b32_e32 v10, v0, v10, vcc
	v_cmp_ne_u32_e32 vcc, 0, v6
	v_cndmask_b32_e64 v6, 0, 1, vcc
	s_waitcnt lgkmcnt(0)
	v_lshrrev_b32_e32 v11, 16, v4
	v_mul_f16_sdwa v12, v27, v11 dst_sel:DWORD dst_unused:UNUSED_PAD src0_sel:WORD_1 src1_sel:DWORD
	v_fma_f16 v12, v27, v4, v12
	v_cvt_f32_f16_e32 v12, v12
	v_lshl_or_b32 v6, v6, 9, v0
	v_cmp_eq_u32_e32 vcc, s10, v9
	v_cndmask_b32_e32 v9, v10, v6, vcc
	v_lshrrev_b32_e32 v10, 16, v7
	v_cvt_f64_f32_e32 v[6:7], v12
	v_mov_b32_e32 v12, 0xfffffa80
	v_and_or_b32 v9, v10, s11, v9
	v_and_b32_e32 v10, 0xffff, v1
	v_mul_f64 v[6:7], v[6:7], s[2:3]
	v_mad_u64_u32 v[1:2], s[0:1], s8, v12, v[2:3]
	s_mul_i32 s0, s9, 0xfffffa80
	s_sub_i32 s9, s0, s8
	v_lshl_or_b32 v3, v9, 16, v10
	v_add_u32_e32 v2, s9, v2
	global_store_dword v[1:2], v3, off
	v_and_or_b32 v3, v7, s6, v6
	v_cmp_ne_u32_e32 vcc, 0, v3
	v_cndmask_b32_e64 v3, 0, 1, vcc
	v_lshrrev_b32_e32 v6, 8, v7
	v_bfe_u32 v9, v7, 20, 11
	v_and_or_b32 v6, v6, s7, v3
	v_sub_u32_e32 v10, 0x3f1, v9
	v_or_b32_e32 v3, 0x1000, v6
	v_med3_i32 v10, v10, 0, 13
	v_lshrrev_b32_e32 v13, v10, v3
	v_lshlrev_b32_e32 v10, v10, v13
	v_mul_f16_sdwa v4, v27, v4 dst_sel:DWORD dst_unused:UNUSED_PAD src0_sel:WORD_1 src1_sel:DWORD
	v_cmp_ne_u32_e32 vcc, v10, v3
	v_fma_f16 v4, v27, v11, -v4
	v_cndmask_b32_e64 v3, 0, 1, vcc
	v_add_u32_e32 v9, 0xfffffc10, v9
	v_cvt_f32_f16_e32 v4, v4
	v_or_b32_e32 v3, v13, v3
	v_lshl_or_b32 v10, v9, 12, v6
	v_cmp_gt_i32_e32 vcc, 1, v9
	v_cndmask_b32_e32 v3, v10, v3, vcc
	v_and_b32_e32 v10, 7, v3
	v_cmp_lt_i32_e32 vcc, 5, v10
	v_cmp_eq_u32_e64 s[0:1], 3, v10
	v_lshrrev_b32_e32 v10, 2, v3
	v_cvt_f64_f32_e32 v[3:4], v4
	s_or_b64 vcc, s[0:1], vcc
	v_addc_co_u32_e32 v10, vcc, 0, v10, vcc
	v_mul_f64 v[3:4], v[3:4], s[2:3]
	v_cmp_gt_i32_e32 vcc, 31, v9
	v_cndmask_b32_e32 v10, v0, v10, vcc
	v_cmp_ne_u32_e32 vcc, 0, v6
	v_cndmask_b32_e64 v6, 0, 1, vcc
	v_lshl_or_b32 v6, v6, 9, v0
	v_cmp_eq_u32_e32 vcc, s10, v9
	v_cndmask_b32_e32 v6, v10, v6, vcc
	v_and_or_b32 v3, v4, s6, v3
	v_lshrrev_b32_e32 v7, 16, v7
	v_cmp_ne_u32_e32 vcc, 0, v3
	v_and_or_b32 v9, v7, s11, v6
	v_cndmask_b32_e64 v3, 0, 1, vcc
	v_lshrrev_b32_e32 v6, 8, v4
	v_bfe_u32 v7, v4, 20, 11
	v_and_or_b32 v3, v6, s7, v3
	v_sub_u32_e32 v10, 0x3f1, v7
	v_or_b32_e32 v6, 0x1000, v3
	v_med3_i32 v10, v10, 0, 13
	v_lshrrev_b32_e32 v11, v10, v6
	v_lshlrev_b32_e32 v10, v10, v11
	v_cmp_ne_u32_e32 vcc, v10, v6
	v_cndmask_b32_e64 v6, 0, 1, vcc
	v_add_u32_e32 v7, 0xfffffc10, v7
	v_or_b32_e32 v6, v11, v6
	v_lshl_or_b32 v10, v7, 12, v3
	v_cmp_gt_i32_e32 vcc, 1, v7
	v_cndmask_b32_e32 v6, v10, v6, vcc
	v_and_b32_e32 v10, 7, v6
	v_cmp_lt_i32_e32 vcc, 5, v10
	v_cmp_eq_u32_e64 s[0:1], 3, v10
	v_lshrrev_b32_e32 v10, 16, v8
	v_lshrrev_b32_e32 v6, 2, v6
	s_or_b64 vcc, s[0:1], vcc
	v_mul_f16_sdwa v11, v26, v10 dst_sel:DWORD dst_unused:UNUSED_PAD src0_sel:WORD_1 src1_sel:DWORD
	v_addc_co_u32_e32 v6, vcc, 0, v6, vcc
	v_fma_f16 v11, v26, v8, v11
	v_cmp_gt_i32_e32 vcc, 31, v7
	v_cvt_f32_f16_e32 v11, v11
	v_cndmask_b32_e32 v6, v0, v6, vcc
	v_cmp_ne_u32_e32 vcc, 0, v3
	v_cndmask_b32_e64 v3, 0, 1, vcc
	v_lshl_or_b32 v3, v3, 9, v0
	v_cmp_eq_u32_e32 vcc, s10, v7
	v_cndmask_b32_e32 v3, v6, v3, vcc
	v_cvt_f64_f32_e32 v[6:7], v11
	v_lshrrev_b32_e32 v4, 16, v4
	v_and_or_b32 v11, v4, s11, v3
	v_add_co_u32_e32 v1, vcc, s5, v1
	v_mul_f64 v[3:4], v[6:7], s[2:3]
	v_mov_b32_e32 v7, s4
	v_and_b32_e32 v9, 0xffff, v9
	v_addc_co_u32_e32 v2, vcc, v2, v7, vcc
	v_lshl_or_b32 v6, v11, 16, v9
	global_store_dword v[1:2], v6, off
	v_mul_f16_sdwa v8, v26, v8 dst_sel:DWORD dst_unused:UNUSED_PAD src0_sel:WORD_1 src1_sel:DWORD
	v_and_or_b32 v3, v4, s6, v3
	v_cmp_ne_u32_e32 vcc, 0, v3
	v_cndmask_b32_e64 v3, 0, 1, vcc
	v_lshrrev_b32_e32 v6, 8, v4
	v_bfe_u32 v7, v4, 20, 11
	v_and_or_b32 v3, v6, s7, v3
	v_sub_u32_e32 v9, 0x3f1, v7
	v_or_b32_e32 v6, 0x1000, v3
	v_med3_i32 v9, v9, 0, 13
	v_lshrrev_b32_e32 v11, v9, v6
	v_lshlrev_b32_e32 v9, v9, v11
	v_cmp_ne_u32_e32 vcc, v9, v6
	v_fma_f16 v8, v26, v10, -v8
	v_cndmask_b32_e64 v6, 0, 1, vcc
	v_add_u32_e32 v9, 0xfffffc10, v7
	v_cvt_f32_f16_e32 v8, v8
	v_or_b32_e32 v6, v11, v6
	v_lshl_or_b32 v7, v9, 12, v3
	v_cmp_gt_i32_e32 vcc, 1, v9
	v_cndmask_b32_e32 v6, v7, v6, vcc
	v_and_b32_e32 v7, 7, v6
	v_cmp_lt_i32_e32 vcc, 5, v7
	v_cmp_eq_u32_e64 s[0:1], 3, v7
	v_lshrrev_b32_e32 v10, 2, v6
	v_cvt_f64_f32_e32 v[6:7], v8
	s_or_b64 vcc, s[0:1], vcc
	v_addc_co_u32_e32 v8, vcc, 0, v10, vcc
	v_mul_f64 v[6:7], v[6:7], s[2:3]
	v_cmp_gt_i32_e32 vcc, 31, v9
	v_cndmask_b32_e32 v8, v0, v8, vcc
	v_cmp_ne_u32_e32 vcc, 0, v3
	v_cndmask_b32_e64 v3, 0, 1, vcc
	v_lshl_or_b32 v3, v3, 9, v0
	v_cmp_eq_u32_e32 vcc, s10, v9
	v_cndmask_b32_e32 v3, v8, v3, vcc
	v_lshrrev_b32_e32 v4, 16, v4
	v_and_or_b32 v8, v4, s11, v3
	v_and_or_b32 v3, v7, s6, v6
	v_cmp_ne_u32_e32 vcc, 0, v3
	v_cndmask_b32_e64 v3, 0, 1, vcc
	v_lshrrev_b32_e32 v4, 8, v7
	v_bfe_u32 v6, v7, 20, 11
	v_and_or_b32 v3, v4, s7, v3
	v_sub_u32_e32 v9, 0x3f1, v6
	v_or_b32_e32 v4, 0x1000, v3
	v_med3_i32 v9, v9, 0, 13
	v_lshrrev_b32_e32 v10, v9, v4
	v_lshlrev_b32_e32 v9, v9, v10
	v_cmp_ne_u32_e32 vcc, v9, v4
	v_cndmask_b32_e64 v4, 0, 1, vcc
	v_add_u32_e32 v6, 0xfffffc10, v6
	v_or_b32_e32 v4, v10, v4
	v_lshl_or_b32 v9, v6, 12, v3
	v_cmp_gt_i32_e32 vcc, 1, v6
	v_cndmask_b32_e32 v4, v9, v4, vcc
	v_and_b32_e32 v9, 7, v4
	v_cmp_lt_i32_e32 vcc, 5, v9
	v_cmp_eq_u32_e64 s[0:1], 3, v9
	v_lshrrev_b32_e32 v4, 2, v4
	s_or_b64 vcc, s[0:1], vcc
	v_addc_co_u32_e32 v4, vcc, 0, v4, vcc
	v_cmp_gt_i32_e32 vcc, 31, v6
	v_lshrrev_b32_e32 v10, 16, v5
	v_cndmask_b32_e32 v9, v0, v4, vcc
	v_mul_f16_sdwa v4, v25, v10 dst_sel:DWORD dst_unused:UNUSED_PAD src0_sel:WORD_1 src1_sel:DWORD
	v_fma_f16 v4, v25, v5, v4
	v_cvt_f32_f16_e32 v4, v4
	v_cmp_ne_u32_e32 vcc, 0, v3
	v_cndmask_b32_e64 v3, 0, 1, vcc
	v_lshl_or_b32 v11, v3, 9, v0
	v_cvt_f64_f32_e32 v[3:4], v4
	v_mad_u64_u32 v[1:2], s[0:1], s8, v12, v[1:2]
	v_cmp_eq_u32_e32 vcc, s10, v6
	v_mul_f64 v[3:4], v[3:4], s[2:3]
	v_cndmask_b32_e32 v6, v9, v11, vcc
	v_lshrrev_b32_e32 v7, 16, v7
	v_and_or_b32 v6, v7, s11, v6
	v_and_b32_e32 v7, 0xffff, v8
	v_lshl_or_b32 v6, v6, 16, v7
	v_add_u32_e32 v2, s9, v2
	global_store_dword v[1:2], v6, off
	v_and_or_b32 v3, v4, s6, v3
	v_cmp_ne_u32_e32 vcc, 0, v3
	v_cndmask_b32_e64 v3, 0, 1, vcc
	v_lshrrev_b32_e32 v6, 8, v4
	v_bfe_u32 v7, v4, 20, 11
	v_and_or_b32 v3, v6, s7, v3
	v_sub_u32_e32 v8, 0x3f1, v7
	v_or_b32_e32 v6, 0x1000, v3
	v_med3_i32 v8, v8, 0, 13
	v_lshrrev_b32_e32 v9, v8, v6
	v_lshlrev_b32_e32 v8, v8, v9
	v_mul_f16_sdwa v5, v25, v5 dst_sel:DWORD dst_unused:UNUSED_PAD src0_sel:WORD_1 src1_sel:DWORD
	v_cmp_ne_u32_e32 vcc, v8, v6
	v_fma_f16 v5, v25, v10, -v5
	v_cndmask_b32_e64 v6, 0, 1, vcc
	v_add_u32_e32 v7, 0xfffffc10, v7
	v_cvt_f32_f16_e32 v5, v5
	v_or_b32_e32 v6, v9, v6
	v_lshl_or_b32 v8, v7, 12, v3
	v_cmp_gt_i32_e32 vcc, 1, v7
	v_cndmask_b32_e32 v6, v8, v6, vcc
	v_and_b32_e32 v8, 7, v6
	v_cmp_lt_i32_e32 vcc, 5, v8
	v_cmp_eq_u32_e64 s[0:1], 3, v8
	v_lshrrev_b32_e32 v8, 2, v6
	v_cvt_f64_f32_e32 v[5:6], v5
	s_or_b64 vcc, s[0:1], vcc
	v_addc_co_u32_e32 v8, vcc, 0, v8, vcc
	v_mul_f64 v[5:6], v[5:6], s[2:3]
	v_cmp_gt_i32_e32 vcc, 31, v7
	v_cndmask_b32_e32 v8, v0, v8, vcc
	v_cmp_ne_u32_e32 vcc, 0, v3
	v_cndmask_b32_e64 v3, 0, 1, vcc
	v_lshl_or_b32 v3, v3, 9, v0
	v_cmp_eq_u32_e32 vcc, s10, v7
	v_cndmask_b32_e32 v3, v8, v3, vcc
	v_lshrrev_b32_e32 v4, 16, v4
	v_and_or_b32 v3, v4, s11, v3
	v_and_or_b32 v4, v6, s6, v5
	v_cmp_ne_u32_e32 vcc, 0, v4
	v_cndmask_b32_e64 v4, 0, 1, vcc
	v_lshrrev_b32_e32 v5, 8, v6
	v_bfe_u32 v7, v6, 20, 11
	v_and_or_b32 v4, v5, s7, v4
	v_sub_u32_e32 v8, 0x3f1, v7
	v_or_b32_e32 v5, 0x1000, v4
	v_med3_i32 v8, v8, 0, 13
	v_lshrrev_b32_e32 v9, v8, v5
	v_lshlrev_b32_e32 v8, v8, v9
	v_cmp_ne_u32_e32 vcc, v8, v5
	v_cndmask_b32_e64 v5, 0, 1, vcc
	v_add_u32_e32 v7, 0xfffffc10, v7
	v_or_b32_e32 v5, v9, v5
	v_lshl_or_b32 v8, v7, 12, v4
	v_cmp_gt_i32_e32 vcc, 1, v7
	v_cndmask_b32_e32 v5, v8, v5, vcc
	v_and_b32_e32 v8, 7, v5
	v_cmp_lt_i32_e32 vcc, 5, v8
	v_cmp_eq_u32_e64 s[0:1], 3, v8
	v_lshrrev_b32_e32 v5, 2, v5
	s_or_b64 vcc, s[0:1], vcc
	v_addc_co_u32_e32 v5, vcc, 0, v5, vcc
	v_cmp_gt_i32_e32 vcc, 31, v7
	v_cndmask_b32_e32 v5, v0, v5, vcc
	v_cmp_ne_u32_e32 vcc, 0, v4
	v_cndmask_b32_e64 v4, 0, 1, vcc
	v_lshl_or_b32 v0, v4, 9, v0
	v_cmp_eq_u32_e32 vcc, s10, v7
	v_cndmask_b32_e32 v0, v5, v0, vcc
	v_lshrrev_b32_e32 v4, 16, v6
	v_and_or_b32 v0, v4, s11, v0
	v_and_b32_e32 v3, 0xffff, v3
	v_lshl_or_b32 v3, v0, 16, v3
	v_mov_b32_e32 v4, s4
	v_add_co_u32_e32 v0, vcc, s5, v1
	v_addc_co_u32_e32 v1, vcc, v2, v4, vcc
	global_store_dword v[0:1], v3, off
.LBB0_10:
	s_endpgm
	.section	.rodata,"a",@progbits
	.p2align	6, 0x0
	.amdhsa_kernel bluestein_single_back_len1056_dim1_half_op_CI_CI
		.amdhsa_group_segment_fixed_size 4224
		.amdhsa_private_segment_fixed_size 0
		.amdhsa_kernarg_size 104
		.amdhsa_user_sgpr_count 6
		.amdhsa_user_sgpr_private_segment_buffer 1
		.amdhsa_user_sgpr_dispatch_ptr 0
		.amdhsa_user_sgpr_queue_ptr 0
		.amdhsa_user_sgpr_kernarg_segment_ptr 1
		.amdhsa_user_sgpr_dispatch_id 0
		.amdhsa_user_sgpr_flat_scratch_init 0
		.amdhsa_user_sgpr_private_segment_size 0
		.amdhsa_uses_dynamic_stack 0
		.amdhsa_system_sgpr_private_segment_wavefront_offset 0
		.amdhsa_system_sgpr_workgroup_id_x 1
		.amdhsa_system_sgpr_workgroup_id_y 0
		.amdhsa_system_sgpr_workgroup_id_z 0
		.amdhsa_system_sgpr_workgroup_info 0
		.amdhsa_system_vgpr_workitem_id 0
		.amdhsa_next_free_vgpr 168
		.amdhsa_next_free_sgpr 23
		.amdhsa_reserve_vcc 1
		.amdhsa_reserve_flat_scratch 0
		.amdhsa_float_round_mode_32 0
		.amdhsa_float_round_mode_16_64 0
		.amdhsa_float_denorm_mode_32 3
		.amdhsa_float_denorm_mode_16_64 3
		.amdhsa_dx10_clamp 1
		.amdhsa_ieee_mode 1
		.amdhsa_fp16_overflow 0
		.amdhsa_exception_fp_ieee_invalid_op 0
		.amdhsa_exception_fp_denorm_src 0
		.amdhsa_exception_fp_ieee_div_zero 0
		.amdhsa_exception_fp_ieee_overflow 0
		.amdhsa_exception_fp_ieee_underflow 0
		.amdhsa_exception_fp_ieee_inexact 0
		.amdhsa_exception_int_div_zero 0
	.end_amdhsa_kernel
	.text
.Lfunc_end0:
	.size	bluestein_single_back_len1056_dim1_half_op_CI_CI, .Lfunc_end0-bluestein_single_back_len1056_dim1_half_op_CI_CI
                                        ; -- End function
	.section	.AMDGPU.csdata,"",@progbits
; Kernel info:
; codeLenInByte = 13028
; NumSgprs: 27
; NumVgprs: 168
; ScratchSize: 0
; MemoryBound: 0
; FloatMode: 240
; IeeeMode: 1
; LDSByteSize: 4224 bytes/workgroup (compile time only)
; SGPRBlocks: 3
; VGPRBlocks: 41
; NumSGPRsForWavesPerEU: 27
; NumVGPRsForWavesPerEU: 168
; Occupancy: 1
; WaveLimiterHint : 1
; COMPUTE_PGM_RSRC2:SCRATCH_EN: 0
; COMPUTE_PGM_RSRC2:USER_SGPR: 6
; COMPUTE_PGM_RSRC2:TRAP_HANDLER: 0
; COMPUTE_PGM_RSRC2:TGID_X_EN: 1
; COMPUTE_PGM_RSRC2:TGID_Y_EN: 0
; COMPUTE_PGM_RSRC2:TGID_Z_EN: 0
; COMPUTE_PGM_RSRC2:TIDIG_COMP_CNT: 0
	.type	__hip_cuid_2a29e61d4d807c19,@object ; @__hip_cuid_2a29e61d4d807c19
	.section	.bss,"aw",@nobits
	.globl	__hip_cuid_2a29e61d4d807c19
__hip_cuid_2a29e61d4d807c19:
	.byte	0                               ; 0x0
	.size	__hip_cuid_2a29e61d4d807c19, 1

	.ident	"AMD clang version 19.0.0git (https://github.com/RadeonOpenCompute/llvm-project roc-6.4.0 25133 c7fe45cf4b819c5991fe208aaa96edf142730f1d)"
	.section	".note.GNU-stack","",@progbits
	.addrsig
	.addrsig_sym __hip_cuid_2a29e61d4d807c19
	.amdgpu_metadata
---
amdhsa.kernels:
  - .args:
      - .actual_access:  read_only
        .address_space:  global
        .offset:         0
        .size:           8
        .value_kind:     global_buffer
      - .actual_access:  read_only
        .address_space:  global
        .offset:         8
        .size:           8
        .value_kind:     global_buffer
      - .actual_access:  read_only
        .address_space:  global
        .offset:         16
        .size:           8
        .value_kind:     global_buffer
      - .actual_access:  read_only
        .address_space:  global
        .offset:         24
        .size:           8
        .value_kind:     global_buffer
      - .actual_access:  read_only
        .address_space:  global
        .offset:         32
        .size:           8
        .value_kind:     global_buffer
      - .offset:         40
        .size:           8
        .value_kind:     by_value
      - .address_space:  global
        .offset:         48
        .size:           8
        .value_kind:     global_buffer
      - .address_space:  global
        .offset:         56
        .size:           8
        .value_kind:     global_buffer
      - .address_space:  global
        .offset:         64
        .size:           8
        .value_kind:     global_buffer
      - .address_space:  global
        .offset:         72
        .size:           8
        .value_kind:     global_buffer
      - .offset:         80
        .size:           4
        .value_kind:     by_value
      - .address_space:  global
        .offset:         88
        .size:           8
        .value_kind:     global_buffer
      - .address_space:  global
        .offset:         96
        .size:           8
        .value_kind:     global_buffer
    .group_segment_fixed_size: 4224
    .kernarg_segment_align: 8
    .kernarg_segment_size: 104
    .language:       OpenCL C
    .language_version:
      - 2
      - 0
    .max_flat_workgroup_size: 176
    .name:           bluestein_single_back_len1056_dim1_half_op_CI_CI
    .private_segment_fixed_size: 0
    .sgpr_count:     27
    .sgpr_spill_count: 0
    .symbol:         bluestein_single_back_len1056_dim1_half_op_CI_CI.kd
    .uniform_work_group_size: 1
    .uses_dynamic_stack: false
    .vgpr_count:     168
    .vgpr_spill_count: 0
    .wavefront_size: 64
amdhsa.target:   amdgcn-amd-amdhsa--gfx906
amdhsa.version:
  - 1
  - 2
...

	.end_amdgpu_metadata
